;; amdgpu-corpus repo=ROCm/rocFFT kind=compiled arch=gfx1030 opt=O3
	.text
	.amdgcn_target "amdgcn-amd-amdhsa--gfx1030"
	.amdhsa_code_object_version 6
	.protected	fft_rtc_back_len1890_factors_2_3_3_3_7_5_wgs_126_tpt_126_halfLds_dp_op_CI_CI_unitstride_sbrr_R2C_dirReg ; -- Begin function fft_rtc_back_len1890_factors_2_3_3_3_7_5_wgs_126_tpt_126_halfLds_dp_op_CI_CI_unitstride_sbrr_R2C_dirReg
	.globl	fft_rtc_back_len1890_factors_2_3_3_3_7_5_wgs_126_tpt_126_halfLds_dp_op_CI_CI_unitstride_sbrr_R2C_dirReg
	.p2align	8
	.type	fft_rtc_back_len1890_factors_2_3_3_3_7_5_wgs_126_tpt_126_halfLds_dp_op_CI_CI_unitstride_sbrr_R2C_dirReg,@function
fft_rtc_back_len1890_factors_2_3_3_3_7_5_wgs_126_tpt_126_halfLds_dp_op_CI_CI_unitstride_sbrr_R2C_dirReg: ; @fft_rtc_back_len1890_factors_2_3_3_3_7_5_wgs_126_tpt_126_halfLds_dp_op_CI_CI_unitstride_sbrr_R2C_dirReg
; %bb.0:
	s_clause 0x2
	s_load_dwordx4 s[12:15], s[4:5], 0x0
	s_load_dwordx4 s[8:11], s[4:5], 0x58
	;; [unrolled: 1-line block ×3, first 2 shown]
	v_mul_u32_u24_e32 v1, 0x209, v0
	v_mov_b32_e32 v3, 0
	v_add_nc_u32_sdwa v5, s6, v1 dst_sel:DWORD dst_unused:UNUSED_PAD src0_sel:DWORD src1_sel:WORD_1
	v_mov_b32_e32 v1, 0
	v_mov_b32_e32 v6, v3
	v_mov_b32_e32 v2, 0
	s_waitcnt lgkmcnt(0)
	v_cmp_lt_u64_e64 s0, s[14:15], 2
	s_and_b32 vcc_lo, exec_lo, s0
	s_cbranch_vccnz .LBB0_8
; %bb.1:
	s_load_dwordx2 s[0:1], s[4:5], 0x10
	v_mov_b32_e32 v1, 0
	v_mov_b32_e32 v2, 0
	s_add_u32 s2, s18, 8
	s_addc_u32 s3, s19, 0
	s_add_u32 s6, s16, 8
	s_addc_u32 s7, s17, 0
	v_mov_b32_e32 v85, v2
	v_mov_b32_e32 v84, v1
	s_mov_b64 s[22:23], 1
	s_waitcnt lgkmcnt(0)
	s_add_u32 s20, s0, 8
	s_addc_u32 s21, s1, 0
.LBB0_2:                                ; =>This Inner Loop Header: Depth=1
	s_load_dwordx2 s[24:25], s[20:21], 0x0
                                        ; implicit-def: $vgpr88_vgpr89
	s_mov_b32 s0, exec_lo
	s_waitcnt lgkmcnt(0)
	v_or_b32_e32 v4, s25, v6
	v_cmpx_ne_u64_e32 0, v[3:4]
	s_xor_b32 s1, exec_lo, s0
	s_cbranch_execz .LBB0_4
; %bb.3:                                ;   in Loop: Header=BB0_2 Depth=1
	v_cvt_f32_u32_e32 v4, s24
	v_cvt_f32_u32_e32 v7, s25
	s_sub_u32 s0, 0, s24
	s_subb_u32 s26, 0, s25
	v_fmac_f32_e32 v4, 0x4f800000, v7
	v_rcp_f32_e32 v4, v4
	v_mul_f32_e32 v4, 0x5f7ffffc, v4
	v_mul_f32_e32 v7, 0x2f800000, v4
	v_trunc_f32_e32 v7, v7
	v_fmac_f32_e32 v4, 0xcf800000, v7
	v_cvt_u32_f32_e32 v7, v7
	v_cvt_u32_f32_e32 v4, v4
	v_mul_lo_u32 v8, s0, v7
	v_mul_hi_u32 v9, s0, v4
	v_mul_lo_u32 v10, s26, v4
	v_add_nc_u32_e32 v8, v9, v8
	v_mul_lo_u32 v9, s0, v4
	v_add_nc_u32_e32 v8, v8, v10
	v_mul_hi_u32 v10, v4, v9
	v_mul_lo_u32 v11, v4, v8
	v_mul_hi_u32 v12, v4, v8
	v_mul_hi_u32 v13, v7, v9
	v_mul_lo_u32 v9, v7, v9
	v_mul_hi_u32 v14, v7, v8
	v_mul_lo_u32 v8, v7, v8
	v_add_co_u32 v10, vcc_lo, v10, v11
	v_add_co_ci_u32_e32 v11, vcc_lo, 0, v12, vcc_lo
	v_add_co_u32 v9, vcc_lo, v10, v9
	v_add_co_ci_u32_e32 v9, vcc_lo, v11, v13, vcc_lo
	v_add_co_ci_u32_e32 v10, vcc_lo, 0, v14, vcc_lo
	v_add_co_u32 v8, vcc_lo, v9, v8
	v_add_co_ci_u32_e32 v9, vcc_lo, 0, v10, vcc_lo
	v_add_co_u32 v4, vcc_lo, v4, v8
	v_add_co_ci_u32_e32 v7, vcc_lo, v7, v9, vcc_lo
	v_mul_hi_u32 v8, s0, v4
	v_mul_lo_u32 v10, s26, v4
	v_mul_lo_u32 v9, s0, v7
	v_add_nc_u32_e32 v8, v8, v9
	v_mul_lo_u32 v9, s0, v4
	v_add_nc_u32_e32 v8, v8, v10
	v_mul_hi_u32 v10, v4, v9
	v_mul_lo_u32 v11, v4, v8
	v_mul_hi_u32 v12, v4, v8
	v_mul_hi_u32 v13, v7, v9
	v_mul_lo_u32 v9, v7, v9
	v_mul_hi_u32 v14, v7, v8
	v_mul_lo_u32 v8, v7, v8
	v_add_co_u32 v10, vcc_lo, v10, v11
	v_add_co_ci_u32_e32 v11, vcc_lo, 0, v12, vcc_lo
	v_add_co_u32 v9, vcc_lo, v10, v9
	v_add_co_ci_u32_e32 v9, vcc_lo, v11, v13, vcc_lo
	v_add_co_ci_u32_e32 v10, vcc_lo, 0, v14, vcc_lo
	v_add_co_u32 v8, vcc_lo, v9, v8
	v_add_co_ci_u32_e32 v9, vcc_lo, 0, v10, vcc_lo
	v_add_co_u32 v4, vcc_lo, v4, v8
	v_add_co_ci_u32_e32 v11, vcc_lo, v7, v9, vcc_lo
	v_mul_hi_u32 v13, v5, v4
	v_mad_u64_u32 v[9:10], null, v6, v4, 0
	v_mad_u64_u32 v[7:8], null, v5, v11, 0
	;; [unrolled: 1-line block ×3, first 2 shown]
	v_add_co_u32 v4, vcc_lo, v13, v7
	v_add_co_ci_u32_e32 v7, vcc_lo, 0, v8, vcc_lo
	v_add_co_u32 v4, vcc_lo, v4, v9
	v_add_co_ci_u32_e32 v4, vcc_lo, v7, v10, vcc_lo
	v_add_co_ci_u32_e32 v7, vcc_lo, 0, v12, vcc_lo
	v_add_co_u32 v4, vcc_lo, v4, v11
	v_add_co_ci_u32_e32 v9, vcc_lo, 0, v7, vcc_lo
	v_mul_lo_u32 v10, s25, v4
	v_mad_u64_u32 v[7:8], null, s24, v4, 0
	v_mul_lo_u32 v11, s24, v9
	v_sub_co_u32 v7, vcc_lo, v5, v7
	v_add3_u32 v8, v8, v11, v10
	v_sub_nc_u32_e32 v10, v6, v8
	v_subrev_co_ci_u32_e64 v10, s0, s25, v10, vcc_lo
	v_add_co_u32 v11, s0, v4, 2
	v_add_co_ci_u32_e64 v12, s0, 0, v9, s0
	v_sub_co_u32 v13, s0, v7, s24
	v_sub_co_ci_u32_e32 v8, vcc_lo, v6, v8, vcc_lo
	v_subrev_co_ci_u32_e64 v10, s0, 0, v10, s0
	v_cmp_le_u32_e32 vcc_lo, s24, v13
	v_cmp_eq_u32_e64 s0, s25, v8
	v_cndmask_b32_e64 v13, 0, -1, vcc_lo
	v_cmp_le_u32_e32 vcc_lo, s25, v10
	v_cndmask_b32_e64 v14, 0, -1, vcc_lo
	v_cmp_le_u32_e32 vcc_lo, s24, v7
	;; [unrolled: 2-line block ×3, first 2 shown]
	v_cndmask_b32_e64 v15, 0, -1, vcc_lo
	v_cmp_eq_u32_e32 vcc_lo, s25, v10
	v_cndmask_b32_e64 v7, v15, v7, s0
	v_cndmask_b32_e32 v10, v14, v13, vcc_lo
	v_add_co_u32 v13, vcc_lo, v4, 1
	v_add_co_ci_u32_e32 v14, vcc_lo, 0, v9, vcc_lo
	v_cmp_ne_u32_e32 vcc_lo, 0, v10
	v_cndmask_b32_e32 v8, v14, v12, vcc_lo
	v_cndmask_b32_e32 v10, v13, v11, vcc_lo
	v_cmp_ne_u32_e32 vcc_lo, 0, v7
	v_cndmask_b32_e32 v89, v9, v8, vcc_lo
	v_cndmask_b32_e32 v88, v4, v10, vcc_lo
.LBB0_4:                                ;   in Loop: Header=BB0_2 Depth=1
	s_andn2_saveexec_b32 s0, s1
	s_cbranch_execz .LBB0_6
; %bb.5:                                ;   in Loop: Header=BB0_2 Depth=1
	v_cvt_f32_u32_e32 v4, s24
	s_sub_i32 s1, 0, s24
	v_mov_b32_e32 v89, v3
	v_rcp_iflag_f32_e32 v4, v4
	v_mul_f32_e32 v4, 0x4f7ffffe, v4
	v_cvt_u32_f32_e32 v4, v4
	v_mul_lo_u32 v7, s1, v4
	v_mul_hi_u32 v7, v4, v7
	v_add_nc_u32_e32 v4, v4, v7
	v_mul_hi_u32 v4, v5, v4
	v_mul_lo_u32 v7, v4, s24
	v_add_nc_u32_e32 v8, 1, v4
	v_sub_nc_u32_e32 v7, v5, v7
	v_subrev_nc_u32_e32 v9, s24, v7
	v_cmp_le_u32_e32 vcc_lo, s24, v7
	v_cndmask_b32_e32 v7, v7, v9, vcc_lo
	v_cndmask_b32_e32 v4, v4, v8, vcc_lo
	v_cmp_le_u32_e32 vcc_lo, s24, v7
	v_add_nc_u32_e32 v8, 1, v4
	v_cndmask_b32_e32 v88, v4, v8, vcc_lo
.LBB0_6:                                ;   in Loop: Header=BB0_2 Depth=1
	s_or_b32 exec_lo, exec_lo, s0
	v_mul_lo_u32 v4, v89, s24
	v_mul_lo_u32 v9, v88, s25
	s_load_dwordx2 s[0:1], s[6:7], 0x0
	v_mad_u64_u32 v[7:8], null, v88, s24, 0
	s_load_dwordx2 s[24:25], s[2:3], 0x0
	s_add_u32 s22, s22, 1
	s_addc_u32 s23, s23, 0
	s_add_u32 s2, s2, 8
	s_addc_u32 s3, s3, 0
	s_add_u32 s6, s6, 8
	v_add3_u32 v4, v8, v9, v4
	v_sub_co_u32 v5, vcc_lo, v5, v7
	s_addc_u32 s7, s7, 0
	s_add_u32 s20, s20, 8
	v_sub_co_ci_u32_e32 v4, vcc_lo, v6, v4, vcc_lo
	s_addc_u32 s21, s21, 0
	s_waitcnt lgkmcnt(0)
	v_mul_lo_u32 v6, s0, v4
	v_mul_lo_u32 v7, s1, v5
	v_mad_u64_u32 v[1:2], null, s0, v5, v[1:2]
	v_mul_lo_u32 v4, s24, v4
	v_mul_lo_u32 v8, s25, v5
	v_mad_u64_u32 v[84:85], null, s24, v5, v[84:85]
	v_cmp_ge_u64_e64 s0, s[22:23], s[14:15]
	v_add3_u32 v2, v7, v2, v6
	v_add3_u32 v85, v8, v85, v4
	s_and_b32 vcc_lo, exec_lo, s0
	s_cbranch_vccnz .LBB0_9
; %bb.7:                                ;   in Loop: Header=BB0_2 Depth=1
	v_mov_b32_e32 v5, v88
	v_mov_b32_e32 v6, v89
	s_branch .LBB0_2
.LBB0_8:
	v_mov_b32_e32 v85, v2
	v_mov_b32_e32 v89, v6
	;; [unrolled: 1-line block ×4, first 2 shown]
.LBB0_9:
	s_load_dwordx2 s[0:1], s[4:5], 0x28
	v_mul_hi_u32 v3, 0x2082083, v0
	s_lshl_b64 s[4:5], s[14:15], 3
                                        ; implicit-def: $vgpr86
                                        ; implicit-def: $vgpr90
                                        ; implicit-def: $vgpr96
                                        ; implicit-def: $vgpr95
                                        ; implicit-def: $vgpr94
                                        ; implicit-def: $vgpr93
                                        ; implicit-def: $vgpr92
	s_add_u32 s2, s18, s4
	s_addc_u32 s3, s19, s5
	s_waitcnt lgkmcnt(0)
	v_cmp_gt_u64_e32 vcc_lo, s[0:1], v[88:89]
	v_cmp_le_u64_e64 s0, s[0:1], v[88:89]
	s_and_saveexec_b32 s1, s0
	s_xor_b32 s0, exec_lo, s1
; %bb.10:
	v_mul_u32_u24_e32 v1, 0x7e, v3
                                        ; implicit-def: $vgpr3
	v_sub_nc_u32_e32 v86, v0, v1
                                        ; implicit-def: $vgpr0
                                        ; implicit-def: $vgpr1_vgpr2
	v_add_nc_u32_e32 v90, 0x7e, v86
	v_add_nc_u32_e32 v96, 0xfc, v86
	;; [unrolled: 1-line block ×6, first 2 shown]
; %bb.11:
	s_andn2_saveexec_b32 s1, s0
	s_cbranch_execz .LBB0_13
; %bb.12:
	s_add_u32 s4, s16, s4
	s_addc_u32 s5, s17, s5
	v_lshlrev_b64 v[1:2], 4, v[1:2]
	s_load_dwordx2 s[4:5], s[4:5], 0x0
	s_waitcnt lgkmcnt(0)
	v_mul_lo_u32 v6, s5, v88
	v_mul_lo_u32 v7, s4, v89
	v_mad_u64_u32 v[4:5], null, s4, v88, 0
	v_add3_u32 v5, v5, v7, v6
	v_mul_u32_u24_e32 v6, 0x7e, v3
	v_lshlrev_b64 v[3:4], 4, v[4:5]
	v_sub_nc_u32_e32 v86, v0, v6
	v_lshlrev_b32_e32 v60, 4, v86
	v_add_co_u32 v0, s0, s8, v3
	v_add_co_ci_u32_e64 v3, s0, s9, v4, s0
	v_add_nc_u32_e32 v90, 0x7e, v86
	v_add_co_u32 v0, s0, v0, v1
	v_add_co_ci_u32_e64 v1, s0, v3, v2, s0
	v_add_nc_u32_e32 v96, 0xfc, v86
	v_add_co_u32 v16, s0, v0, v60
	v_add_co_ci_u32_e64 v17, s0, 0, v1, s0
	s_clause 0x1
	global_load_dwordx4 v[0:3], v[16:17], off
	global_load_dwordx4 v[4:7], v[16:17], off offset:2016
	v_add_co_u32 v8, s0, 0x800, v16
	v_add_co_ci_u32_e64 v9, s0, 0, v17, s0
	v_add_co_u32 v12, s0, 0x1000, v16
	v_add_co_ci_u32_e64 v13, s0, 0, v17, s0
	;; [unrolled: 2-line block ×13, first 2 shown]
	s_clause 0xc
	global_load_dwordx4 v[8:11], v[8:9], off offset:1984
	global_load_dwordx4 v[12:15], v[12:13], off offset:1952
	;; [unrolled: 1-line block ×13, first 2 shown]
	v_add_nc_u32_e32 v60, 0, v60
	v_add_nc_u32_e32 v95, 0x17a, v86
	v_add_nc_u32_e32 v94, 0x1f8, v86
	v_add_nc_u32_e32 v93, 0x276, v86
	v_add_nc_u32_e32 v92, 0x2f4, v86
	s_waitcnt vmcnt(14)
	ds_write_b128 v60, v[0:3]
	s_waitcnt vmcnt(13)
	ds_write_b128 v60, v[4:7] offset:2016
	s_waitcnt vmcnt(12)
	ds_write_b128 v60, v[8:11] offset:4032
	s_waitcnt vmcnt(11)
	ds_write_b128 v60, v[12:15] offset:6048
	s_waitcnt vmcnt(10)
	ds_write_b128 v60, v[16:19] offset:8064
	s_waitcnt vmcnt(9)
	ds_write_b128 v60, v[20:23] offset:10080
	s_waitcnt vmcnt(8)
	ds_write_b128 v60, v[24:27] offset:12096
	s_waitcnt vmcnt(7)
	ds_write_b128 v60, v[28:31] offset:14112
	s_waitcnt vmcnt(6)
	ds_write_b128 v60, v[32:35] offset:16128
	s_waitcnt vmcnt(5)
	ds_write_b128 v60, v[36:39] offset:18144
	s_waitcnt vmcnt(4)
	ds_write_b128 v60, v[40:43] offset:20160
	s_waitcnt vmcnt(3)
	ds_write_b128 v60, v[44:47] offset:22176
	s_waitcnt vmcnt(2)
	ds_write_b128 v60, v[48:51] offset:24192
	s_waitcnt vmcnt(1)
	ds_write_b128 v60, v[52:55] offset:26208
	s_waitcnt vmcnt(0)
	ds_write_b128 v60, v[56:59] offset:28224
.LBB0_13:
	s_or_b32 exec_lo, exec_lo, s1
	v_lshlrev_b32_e32 v87, 4, v86
	s_load_dwordx2 s[2:3], s[2:3], 0x0
	s_waitcnt lgkmcnt(0)
	s_barrier
	buffer_gl0_inv
	v_add_nc_u32_e32 v98, 0, v87
	v_lshl_add_u32 v101, v90, 5, 0
	v_lshl_add_u32 v105, v96, 5, 0
	;; [unrolled: 1-line block ×4, first 2 shown]
	ds_read_b128 v[0:3], v98 offset:15120
	ds_read_b128 v[8:11], v98
	ds_read_b128 v[12:15], v98 offset:2016
	ds_read_b128 v[16:19], v98 offset:17136
	;; [unrolled: 1-line block ×14, first 2 shown]
	v_lshl_add_u32 v99, v93, 5, 0
	v_cmp_gt_u32_e64 s0, 63, v86
	s_waitcnt lgkmcnt(0)
	s_barrier
	buffer_gl0_inv
	v_add_f64 v[64:65], v[8:9], -v[0:1]
	v_add_f64 v[66:67], v[10:11], -v[2:3]
	;; [unrolled: 1-line block ×16, first 2 shown]
	v_fma_f64 v[68:69], v[8:9], 2.0, -v[64:65]
	v_fma_f64 v[70:71], v[10:11], 2.0, -v[66:67]
	;; [unrolled: 1-line block ×14, first 2 shown]
	v_add_nc_u32_e32 v8, v98, v87
	v_lshl_add_u32 v13, v92, 5, 0
	ds_write_b128 v8, v[64:67] offset:16
	ds_write_b128 v101, v[16:19] offset:16
	;; [unrolled: 1-line block ×6, first 2 shown]
	ds_write_b128 v8, v[68:71]
	ds_write_b128 v101, v[9:12]
	;; [unrolled: 1-line block ×7, first 2 shown]
	ds_write_b128 v13, v[52:55] offset:16
	s_and_saveexec_b32 s1, s0
	s_cbranch_execz .LBB0_15
; %bb.14:
	v_fma_f64 v[6:7], v[6:7], 2.0, -v[2:3]
	v_fma_f64 v[4:5], v[4:5], 2.0, -v[0:1]
	ds_write_b128 v8, v[4:7] offset:28224
	ds_write_b128 v8, v[0:3] offset:28240
.LBB0_15:
	s_or_b32 exec_lo, exec_lo, s1
	v_and_b32_e32 v60, 1, v86
	s_waitcnt lgkmcnt(0)
	s_barrier
	buffer_gl0_inv
	v_lshlrev_b32_e32 v91, 4, v93
	v_lshlrev_b32_e32 v4, 5, v60
	;; [unrolled: 1-line block ×3, first 2 shown]
	v_lshrrev_b32_e32 v52, 1, v86
	v_lshrrev_b32_e32 v57, 1, v90
	v_sub_nc_u32_e32 v56, v99, v91
	s_clause 0x1
	global_load_dwordx4 v[8:11], v4, s[12:13]
	global_load_dwordx4 v[4:7], v4, s[12:13] offset:16
	ds_read_b128 v[16:19], v98 offset:14112
	ds_read_b128 v[12:15], v98 offset:16128
	;; [unrolled: 1-line block ×9, first 2 shown]
	ds_read_b128 v[44:47], v98
	v_and_b32_e32 v108, 0xff, v86
	v_lshrrev_b32_e32 v58, 1, v96
	ds_read_b128 v[65:68], v56
	v_lshrrev_b32_e32 v61, 1, v94
	v_mov_b32_e32 v83, 0xaaab
	v_sub_nc_u32_e32 v64, v101, v103
	v_mul_u32_u24_e32 v62, 6, v52
	v_mul_lo_u32 v63, v57, 6
	v_mul_lo_u16 v57, 0xab, v108
	v_mul_lo_u32 v117, v58, 6
	ds_read_b128 v[69:72], v64
	v_mul_lo_u32 v146, v61, 6
	v_mul_u32_u24_sdwa v61, v96, v83 dst_sel:DWORD dst_unused:UNUSED_PAD src0_sel:WORD_0 src1_sel:DWORD
	v_or_b32_e32 v148, v62, v60
	v_lshrrev_b16 v58, 10, v57
	v_lshlrev_b32_e32 v106, 4, v96
	v_lshlrev_b32_e32 v104, 4, v95
	v_lshrrev_b32_e32 v57, 18, v61
	v_or_b32_e32 v150, v117, v60
	v_lshlrev_b32_e32 v97, 4, v94
	v_sub_nc_u32_e32 v52, v105, v106
	v_sub_nc_u32_e32 v53, v102, v104
	v_lshrrev_b32_e32 v59, 1, v95
	v_or_b32_e32 v149, v63, v60
	v_sub_nc_u32_e32 v54, v100, v97
	ds_read_b128 v[73:76], v52
	ds_read_b128 v[77:80], v53
	ds_read_b128 v[109:112], v54
	v_mul_lo_u32 v145, v59, 6
	v_or_b32_e32 v152, v146, v60
	s_mov_b32 s4, 0xe8584caa
	s_mov_b32 s5, 0xbfebb67a
	;; [unrolled: 1-line block ×4, first 2 shown]
	v_and_b32_e32 v107, 0xff, v90
	v_mul_lo_u16 v153, v58, 6
	v_or_b32_e32 v151, v145, v60
	v_mov_b32_e32 v55, 5
	v_lshl_add_u32 v148, v148, 4, 0
	v_mul_lo_u16 v59, 0xab, v107
	s_waitcnt vmcnt(0) lgkmcnt(0)
	s_barrier
	buffer_gl0_inv
	v_mul_u32_u24_sdwa v147, v95, v83 dst_sel:DWORD dst_unused:UNUSED_PAD src0_sel:WORD_0 src1_sel:DWORD
	v_lshrrev_b16 v59, 10, v59
	v_mul_u32_u24_e32 v154, 0x120, v57
	v_cmp_gt_u32_e64 s1, 18, v86
	v_mul_f64 v[61:62], v[67:68], v[10:11]
	v_mul_f64 v[81:82], v[65:66], v[10:11]
	;; [unrolled: 1-line block ×20, first 2 shown]
	v_fma_f64 v[61:62], v[65:66], v[8:9], v[61:62]
	v_fma_f64 v[65:66], v[67:68], v[8:9], -v[81:82]
	v_fma_f64 v[24:25], v[24:25], v[4:5], v[113:114]
	v_fma_f64 v[26:27], v[26:27], v[4:5], -v[115:116]
	;; [unrolled: 2-line block ×10, first 2 shown]
	v_add_f64 v[10:11], v[44:45], v[61:62]
	v_add_f64 v[42:43], v[46:47], v[65:66]
	v_add_f64 v[4:5], v[61:62], v[24:25]
	v_add_f64 v[6:7], v[65:66], v[26:27]
	v_add_f64 v[60:61], v[61:62], -v[24:25]
	v_add_f64 v[65:66], v[65:66], -v[26:27]
	v_add_f64 v[62:63], v[48:49], v[32:33]
	v_add_f64 v[67:68], v[50:51], v[34:35]
	v_add_f64 v[121:122], v[73:74], v[16:17]
	v_add_f64 v[119:120], v[75:76], v[18:19]
	v_add_f64 v[115:116], v[16:17], v[28:29]
	v_add_f64 v[117:118], v[18:19], v[30:31]
	v_add_f64 v[123:124], v[18:19], -v[30:31]
	v_add_f64 v[125:126], v[16:17], -v[28:29]
	v_add_f64 v[81:82], v[71:72], v[50:51]
	v_add_f64 v[113:114], v[69:70], v[48:49]
	;; [unrolled: 8-line block ×3, first 2 shown]
	v_fma_f64 v[44:45], v[4:5], -0.5, v[44:45]
	v_fma_f64 v[46:47], v[6:7], -0.5, v[46:47]
	v_add_f64 v[129:130], v[77:78], v[12:13]
	v_add_f64 v[139:140], v[111:112], v[8:9]
	v_fma_f64 v[62:63], v[62:63], -0.5, v[69:70]
	v_fma_f64 v[67:68], v[67:68], -0.5, v[71:72]
	v_add_f64 v[6:7], v[42:43], v[26:27]
	v_add_f64 v[133:134], v[14:15], -v[36:37]
	v_fma_f64 v[42:43], v[115:116], -0.5, v[73:74]
	v_fma_f64 v[69:70], v[117:118], -0.5, v[75:76]
	v_add_f64 v[137:138], v[12:13], -v[22:23]
	v_add_f64 v[143:144], v[8:9], -v[40:41]
	;; [unrolled: 1-line block ×3, first 2 shown]
	v_add_f64 v[4:5], v[10:11], v[24:25]
	v_fma_f64 v[71:72], v[16:17], -0.5, v[77:78]
	v_fma_f64 v[73:74], v[18:19], -0.5, v[79:80]
	;; [unrolled: 1-line block ×4, first 2 shown]
	v_add_f64 v[14:15], v[119:120], v[30:31]
	v_add_f64 v[12:13], v[121:122], v[28:29]
	;; [unrolled: 1-line block ×4, first 2 shown]
	v_fma_f64 v[24:25], v[65:66], s[4:5], v[44:45]
	v_fma_f64 v[26:27], v[60:61], s[6:7], v[46:47]
	;; [unrolled: 1-line block ×6, first 2 shown]
	v_add_f64 v[18:19], v[127:128], v[36:37]
	v_add_f64 v[20:21], v[141:142], v[38:39]
	v_fma_f64 v[36:37], v[50:51], s[6:7], v[62:63]
	v_fma_f64 v[38:39], v[48:49], s[4:5], v[67:68]
	v_add_f64 v[16:17], v[129:130], v[22:23]
	v_add_f64 v[22:23], v[139:140], v[40:41]
	v_fma_f64 v[40:41], v[123:124], s[4:5], v[42:43]
	v_fma_f64 v[45:46], v[123:124], s[6:7], v[42:43]
	;; [unrolled: 1-line block ×12, first 2 shown]
	v_sub_nc_u16 v44, v86, v153
	v_mul_lo_u16 v49, v59, 6
	v_lshl_add_u32 v50, v149, 4, 0
	v_lshl_add_u32 v51, v150, 4, 0
	;; [unrolled: 1-line block ×3, first 2 shown]
	v_lshlrev_b32_sdwa v79, v55, v44 dst_sel:DWORD dst_unused:UNUSED_PAD src0_sel:DWORD src1_sel:BYTE_0
	v_lshl_add_u32 v78, v152, 4, 0
	ds_write_b128 v148, v[4:7]
	ds_write_b128 v148, v[24:27] offset:32
	ds_write_b128 v148, v[28:31] offset:64
	ds_write_b128 v50, v[8:11]
	ds_write_b128 v50, v[32:35] offset:32
	ds_write_b128 v50, v[36:39] offset:64
	;; [unrolled: 3-line block ×5, first 2 shown]
	v_sub_nc_u16 v45, v90, v49
	s_waitcnt lgkmcnt(0)
	s_barrier
	buffer_gl0_inv
	global_load_dwordx4 v[8:11], v79, s[12:13] offset:64
	v_lshlrev_b32_sdwa v13, v55, v45 dst_sel:DWORD dst_unused:UNUSED_PAD src0_sel:DWORD src1_sel:BYTE_0
	global_load_dwordx4 v[4:7], v79, s[12:13] offset:80
	v_mul_u32_u24_sdwa v14, v94, v83 dst_sel:DWORD dst_unused:UNUSED_PAD src0_sel:WORD_0 src1_sel:DWORD
	v_lshrrev_b32_e32 v46, 18, v147
	v_mul_lo_u16 v12, v57, 6
	global_load_dwordx4 v[36:39], v13, s[12:13] offset:64
	v_mov_b32_e32 v51, 0xe38f
	v_lshrrev_b32_e32 v50, 18, v14
	v_mul_lo_u16 v15, v46, 6
	v_sub_nc_u16 v47, v96, v12
	v_mul_lo_u16 v60, v108, 57
	v_mul_u32_u24_sdwa v73, v95, v51 dst_sel:DWORD dst_unused:UNUSED_PAD src0_sel:WORD_0 src1_sel:DWORD
	v_mul_lo_u16 v14, v50, 6
	v_sub_nc_u16 v48, v95, v15
	v_lshlrev_b32_sdwa v12, v55, v47 dst_sel:DWORD dst_unused:UNUSED_PAD src0_sel:DWORD src1_sel:WORD_0
	s_clause 0x1
	global_load_dwordx4 v[28:31], v13, s[12:13] offset:80
	global_load_dwordx4 v[24:27], v12, s[12:13] offset:64
	v_sub_nc_u16 v49, v94, v14
	v_lshlrev_b32_sdwa v13, v55, v48 dst_sel:DWORD dst_unused:UNUSED_PAD src0_sel:DWORD src1_sel:WORD_0
	s_clause 0x1
	global_load_dwordx4 v[20:23], v12, s[12:13] offset:80
	global_load_dwordx4 v[16:19], v13, s[12:13] offset:64
	v_lshlrev_b32_sdwa v40, v55, v49 dst_sel:DWORD dst_unused:UNUSED_PAD src0_sel:DWORD src1_sel:WORD_0
	s_clause 0x2
	global_load_dwordx4 v[12:15], v13, s[12:13] offset:80
	global_load_dwordx4 v[32:35], v40, s[12:13] offset:64
	;; [unrolled: 1-line block ×3, first 2 shown]
	ds_read_b128 v[65:68], v56
	ds_read_b128 v[69:72], v98 offset:20160
	v_mul_u32_u24_sdwa v63, v96, v51 dst_sel:DWORD dst_unused:UNUSED_PAD src0_sel:WORD_0 src1_sel:DWORD
	v_mul_u32_u24_sdwa v83, v94, v51 dst_sel:DWORD dst_unused:UNUSED_PAD src0_sel:WORD_0 src1_sel:DWORD
	v_lshrrev_b32_e32 v51, 20, v73
	ds_read_b128 v[73:76], v98 offset:12096
	v_mov_b32_e32 v61, 0x120
	v_mul_lo_u16 v62, v107, 57
	v_lshrrev_b16 v152, 10, v60
	v_lshrrev_b32_e32 v60, 20, v63
	ds_read_b128 v[77:80], v64
	ds_read_b128 v[110:113], v98 offset:22176
	ds_read_b128 v[114:117], v98 offset:14112
	v_mul_u32_u24_sdwa v63, v58, v61 dst_sel:DWORD dst_unused:UNUSED_PAD src0_sel:WORD_0 src1_sel:DWORD
	v_lshrrev_b16 v153, 10, v62
	v_mul_u32_u24_sdwa v59, v59, v61 dst_sel:DWORD dst_unused:UNUSED_PAD src0_sel:WORD_0 src1_sel:DWORD
	v_mul_lo_u16 v138, v152, 18
	ds_read_b128 v[118:121], v98 offset:18144
	ds_read_b128 v[122:125], v98 offset:24192
	;; [unrolled: 1-line block ×3, first 2 shown]
	ds_read_b128 v[130:133], v98
	ds_read_b128 v[134:137], v98 offset:26208
	v_mov_b32_e32 v109, 4
	v_mul_u32_u24_e32 v155, 0x120, v46
	v_mul_u32_u24_e32 v156, 0x120, v50
	v_mul_lo_u16 v157, v153, 18
	v_mul_lo_u16 v158, v60, 18
	v_lshlrev_b32_sdwa v159, v109, v45 dst_sel:DWORD dst_unused:UNUSED_PAD src0_sel:DWORD src1_sel:BYTE_0
	v_lshlrev_b32_sdwa v160, v109, v47 dst_sel:DWORD dst_unused:UNUSED_PAD src0_sel:DWORD src1_sel:WORD_0
	v_lshlrev_b32_sdwa v161, v109, v48 dst_sel:DWORD dst_unused:UNUSED_PAD src0_sel:DWORD src1_sel:WORD_0
	v_lshlrev_b32_sdwa v162, v109, v49 dst_sel:DWORD dst_unused:UNUSED_PAD src0_sel:DWORD src1_sel:WORD_0
	s_waitcnt vmcnt(9) lgkmcnt(10)
	v_mul_f64 v[57:58], v[67:68], v[10:11]
	v_mul_f64 v[10:11], v[65:66], v[10:11]
	s_waitcnt vmcnt(8) lgkmcnt(9)
	v_mul_f64 v[61:62], v[71:72], v[6:7]
	v_mul_f64 v[81:82], v[69:70], v[6:7]
	v_sub_nc_u16 v6, v86, v138
	ds_read_b128 v[138:141], v98 offset:28224
	s_waitcnt vmcnt(7) lgkmcnt(9)
	v_mul_f64 v[142:143], v[75:76], v[38:39]
	v_mul_f64 v[38:39], v[73:74], v[38:39]
	v_lshlrev_b32_sdwa v7, v109, v44 dst_sel:DWORD dst_unused:UNUSED_PAD src0_sel:DWORD src1_sel:BYTE_0
	v_lshlrev_b32_sdwa v163, v55, v6 dst_sel:DWORD dst_unused:UNUSED_PAD src0_sel:DWORD src1_sel:BYTE_0
	;; [unrolled: 1-line block ×3, first 2 shown]
	v_add3_u32 v63, 0, v63, v7
	s_waitcnt vmcnt(6) lgkmcnt(7)
	v_mul_f64 v[44:45], v[112:113], v[30:31]
	v_mul_f64 v[30:31], v[110:111], v[30:31]
	s_waitcnt vmcnt(5) lgkmcnt(6)
	v_mul_f64 v[144:145], v[116:117], v[26:27]
	v_fma_f64 v[57:58], v[65:66], v[8:9], v[57:58]
	v_fma_f64 v[65:66], v[67:68], v[8:9], -v[10:11]
	v_mul_f64 v[67:68], v[114:115], v[26:27]
	s_waitcnt vmcnt(4) lgkmcnt(4)
	v_mul_f64 v[146:147], v[124:125], v[22:23]
	v_mul_f64 v[148:149], v[122:123], v[22:23]
	s_waitcnt vmcnt(3) lgkmcnt(3)
	v_mul_f64 v[150:151], v[128:129], v[18:19]
	v_fma_f64 v[61:62], v[69:70], v[4:5], v[61:62]
	v_mul_f64 v[18:19], v[126:127], v[18:19]
	s_waitcnt vmcnt(2) lgkmcnt(1)
	v_mul_f64 v[69:70], v[136:137], v[14:15]
	v_mul_f64 v[14:15], v[134:135], v[14:15]
	v_fma_f64 v[4:5], v[71:72], v[4:5], -v[81:82]
	s_waitcnt vmcnt(1)
	v_mul_f64 v[71:72], v[120:121], v[34:35]
	v_fma_f64 v[73:74], v[73:74], v[36:37], v[142:143]
	v_fma_f64 v[36:37], v[75:76], v[36:37], -v[38:39]
	v_mul_f64 v[34:35], v[118:119], v[34:35]
	s_waitcnt vmcnt(0) lgkmcnt(0)
	v_mul_f64 v[38:39], v[140:141], v[42:43]
	v_mul_f64 v[42:43], v[138:139], v[42:43]
	v_fma_f64 v[44:45], v[110:111], v[28:29], v[44:45]
	v_fma_f64 v[30:31], v[112:113], v[28:29], -v[30:31]
	v_fma_f64 v[46:47], v[114:115], v[24:25], v[144:145]
	ds_read_b128 v[7:10], v52
	ds_read_b128 v[26:29], v53
	v_fma_f64 v[48:49], v[116:117], v[24:25], -v[67:68]
	v_fma_f64 v[67:68], v[122:123], v[20:21], v[146:147]
	v_fma_f64 v[20:21], v[124:125], v[20:21], -v[148:149]
	v_fma_f64 v[75:76], v[126:127], v[16:17], v[150:151]
	ds_read_b128 v[22:25], v54
	v_fma_f64 v[16:17], v[128:129], v[16:17], -v[18:19]
	v_fma_f64 v[69:70], v[134:135], v[12:13], v[69:70]
	v_fma_f64 v[81:82], v[136:137], v[12:13], -v[14:15]
	v_add_f64 v[18:19], v[57:58], v[61:62]
	v_fma_f64 v[11:12], v[118:119], v[32:33], v[71:72]
	v_add_f64 v[114:115], v[77:78], v[73:74]
	v_add_f64 v[112:113], v[79:80], v[36:37]
	v_fma_f64 v[13:14], v[120:121], v[32:33], -v[34:35]
	v_fma_f64 v[32:33], v[138:139], v[40:41], v[38:39]
	v_fma_f64 v[34:35], v[140:141], v[40:41], -v[42:43]
	v_add_f64 v[38:39], v[65:66], v[4:5]
	v_add_f64 v[40:41], v[132:133], v[65:66]
	;; [unrolled: 1-line block ×5, first 2 shown]
	v_add_f64 v[116:117], v[36:37], -v[30:31]
	s_waitcnt lgkmcnt(2)
	v_add_f64 v[122:123], v[7:8], v[46:47]
	v_add_f64 v[120:121], v[9:10], v[48:49]
	;; [unrolled: 1-line block ×4, first 2 shown]
	v_add_f64 v[124:125], v[46:47], -v[67:68]
	v_add_f64 v[65:66], v[65:66], -v[4:5]
	s_waitcnt lgkmcnt(1)
	v_add_f64 v[128:129], v[28:29], v[16:17]
	v_add_f64 v[46:47], v[75:76], v[69:70]
	;; [unrolled: 1-line block ×3, first 2 shown]
	v_add_f64 v[57:58], v[57:58], -v[61:62]
	v_fma_f64 v[130:131], v[18:19], -0.5, v[130:131]
	s_waitcnt lgkmcnt(0)
	v_add_f64 v[144:145], v[22:23], v[11:12]
	v_add_f64 v[73:74], v[73:74], -v[44:45]
	v_add_f64 v[142:143], v[24:25], v[13:14]
	v_add_f64 v[136:137], v[11:12], v[32:33]
	;; [unrolled: 1-line block ×3, first 2 shown]
	v_fma_f64 v[38:39], v[38:39], -0.5, v[132:133]
	v_add_f64 v[146:147], v[13:14], -v[34:35]
	v_fma_f64 v[71:72], v[71:72], -0.5, v[77:78]
	v_add_f64 v[13:14], v[40:41], v[4:5]
	v_fma_f64 v[4:5], v[110:111], -0.5, v[79:80]
	v_add_f64 v[48:49], v[48:49], -v[20:21]
	v_add_f64 v[132:133], v[11:12], -v[32:33]
	v_add_f64 v[11:12], v[42:43], v[61:62]
	v_fma_f64 v[61:62], v[36:37], -0.5, v[7:8]
	v_fma_f64 v[77:78], v[118:119], -0.5, v[9:10]
	v_add_f64 v[134:135], v[26:27], v[75:76]
	v_add_f64 v[138:139], v[16:17], -v[81:82]
	v_add_f64 v[75:76], v[75:76], -v[69:70]
	v_fma_f64 v[79:80], v[46:47], -0.5, v[26:27]
	v_fma_f64 v[110:111], v[126:127], -0.5, v[28:29]
	v_add_f64 v[17:18], v[112:113], v[30:31]
	v_add_f64 v[9:10], v[120:121], v[20:21]
	v_fma_f64 v[27:28], v[65:66], s[4:5], v[130:131]
	v_add_f64 v[15:16], v[114:115], v[44:45]
	v_add_f64 v[7:8], v[122:123], v[67:68]
	v_fma_f64 v[112:113], v[136:137], -0.5, v[22:23]
	v_add_f64 v[21:22], v[128:129], v[81:82]
	v_fma_f64 v[81:82], v[140:141], -0.5, v[24:25]
	v_fma_f64 v[29:30], v[57:58], s[6:7], v[38:39]
	v_add_f64 v[25:26], v[142:143], v[34:35]
	v_add_f64 v[23:24], v[144:145], v[32:33]
	v_fma_f64 v[31:32], v[65:66], s[6:7], v[130:131]
	v_fma_f64 v[33:34], v[57:58], s[4:5], v[38:39]
	;; [unrolled: 1-line block ×10, first 2 shown]
	v_add_f64 v[19:20], v[134:135], v[69:70]
	v_fma_f64 v[65:66], v[138:139], s[4:5], v[79:80]
	v_fma_f64 v[67:68], v[75:76], s[6:7], v[110:111]
	;; [unrolled: 1-line block ×4, first 2 shown]
	v_add3_u32 v4, 0, v59, v159
	v_fma_f64 v[73:74], v[146:147], s[4:5], v[112:113]
	v_fma_f64 v[77:78], v[146:147], s[6:7], v[112:113]
	;; [unrolled: 1-line block ×4, first 2 shown]
	v_add3_u32 v5, 0, v154, v160
	v_add3_u32 v57, 0, v155, v161
	;; [unrolled: 1-line block ×3, first 2 shown]
	s_barrier
	buffer_gl0_inv
	ds_write_b128 v63, v[11:14]
	ds_write_b128 v63, v[27:30] offset:96
	ds_write_b128 v63, v[31:34] offset:192
	ds_write_b128 v4, v[15:18]
	ds_write_b128 v4, v[35:38] offset:96
	ds_write_b128 v4, v[39:42] offset:192
	;; [unrolled: 3-line block ×5, first 2 shown]
	s_waitcnt lgkmcnt(0)
	s_barrier
	buffer_gl0_inv
	s_clause 0x1
	global_load_dwordx4 v[7:10], v163, s[12:13] offset:256
	global_load_dwordx4 v[11:14], v163, s[12:13] offset:272
	v_lshrrev_b32_e32 v81, 20, v83
	v_sub_nc_u16 v63, v90, v157
	v_mul_lo_u16 v4, v51, 18
	v_sub_nc_u16 v83, v96, v158
	v_mul_u32_u24_e32 v148, 0x360, v60
	v_mul_lo_u16 v19, v81, 18
	v_lshlrev_b32_sdwa v5, v55, v63 dst_sel:DWORD dst_unused:UNUSED_PAD src0_sel:DWORD src1_sel:BYTE_0
	v_sub_nc_u16 v144, v95, v4
	v_lshlrev_b32_sdwa v4, v55, v83 dst_sel:DWORD dst_unused:UNUSED_PAD src0_sel:DWORD src1_sel:WORD_0
	v_mul_u32_u24_e32 v150, 0x360, v81
	v_sub_nc_u16 v145, v94, v19
	s_clause 0x1
	global_load_dwordx4 v[15:18], v5, s[12:13] offset:256
	global_load_dwordx4 v[19:22], v5, s[12:13] offset:272
	v_lshlrev_b32_sdwa v5, v55, v144 dst_sel:DWORD dst_unused:UNUSED_PAD src0_sel:DWORD src1_sel:WORD_0
	s_clause 0x2
	global_load_dwordx4 v[23:26], v4, s[12:13] offset:256
	global_load_dwordx4 v[27:30], v4, s[12:13] offset:272
	;; [unrolled: 1-line block ×3, first 2 shown]
	v_lshlrev_b32_sdwa v4, v55, v145 dst_sel:DWORD dst_unused:UNUSED_PAD src0_sel:DWORD src1_sel:WORD_0
	s_clause 0x2
	global_load_dwordx4 v[35:38], v5, s[12:13] offset:272
	global_load_dwordx4 v[39:42], v4, s[12:13] offset:256
	;; [unrolled: 1-line block ×3, first 2 shown]
	ds_read_b128 v[47:50], v56
	ds_read_b128 v[65:68], v98 offset:12096
	ds_read_b128 v[55:58], v98 offset:20160
	ds_read_b128 v[59:62], v98 offset:22176
	ds_read_b128 v[69:72], v98 offset:14112
	ds_read_b128 v[73:76], v64
	ds_read_b128 v[77:80], v98 offset:24192
	ds_read_b128 v[110:113], v98 offset:16128
	;; [unrolled: 1-line block ×5, first 2 shown]
	ds_read_b128 v[126:129], v98
	v_mov_b32_e32 v4, 0x360
	v_mul_u32_u24_e32 v149, 0x360, v51
	v_lshlrev_b32_sdwa v151, v109, v63 dst_sel:DWORD dst_unused:UNUSED_PAD src0_sel:DWORD src1_sel:BYTE_0
	v_lshlrev_b32_sdwa v83, v109, v83 dst_sel:DWORD dst_unused:UNUSED_PAD src0_sel:DWORD src1_sel:WORD_0
	v_lshlrev_b32_sdwa v144, v109, v144 dst_sel:DWORD dst_unused:UNUSED_PAD src0_sel:DWORD src1_sel:WORD_0
	v_mul_u32_u24_sdwa v146, v152, v4 dst_sel:DWORD dst_unused:UNUSED_PAD src0_sel:WORD_0 src1_sel:DWORD
	v_mul_u32_u24_sdwa v147, v153, v4 dst_sel:DWORD dst_unused:UNUSED_PAD src0_sel:WORD_0 src1_sel:DWORD
	v_lshlrev_b32_sdwa v145, v109, v145 dst_sel:DWORD dst_unused:UNUSED_PAD src0_sel:DWORD src1_sel:WORD_0
	v_add3_u32 v146, 0, v146, v6
	s_waitcnt vmcnt(9) lgkmcnt(11)
	v_mul_f64 v[4:5], v[49:50], v[9:10]
	s_waitcnt vmcnt(8) lgkmcnt(9)
	v_mul_f64 v[81:82], v[57:58], v[13:14]
	v_mul_f64 v[9:10], v[47:48], v[9:10]
	;; [unrolled: 1-line block ×3, first 2 shown]
	s_waitcnt vmcnt(7)
	v_mul_f64 v[130:131], v[67:68], v[17:18]
	v_mul_f64 v[17:18], v[65:66], v[17:18]
	s_waitcnt vmcnt(6) lgkmcnt(8)
	v_mul_f64 v[132:133], v[61:62], v[21:22]
	v_mul_f64 v[21:22], v[59:60], v[21:22]
	s_waitcnt vmcnt(5) lgkmcnt(7)
	;; [unrolled: 3-line block ×6, first 2 shown]
	v_mul_f64 v[142:143], v[120:121], v[41:42]
	v_mul_f64 v[41:42], v[118:119], v[41:42]
	v_fma_f64 v[55:56], v[55:56], v[11:12], v[81:82]
	s_waitcnt vmcnt(0) lgkmcnt(1)
	v_mul_f64 v[81:82], v[124:125], v[45:46]
	v_mul_f64 v[45:46], v[122:123], v[45:46]
	v_fma_f64 v[47:48], v[47:48], v[7:8], v[4:5]
	v_fma_f64 v[49:50], v[49:50], v[7:8], -v[9:10]
	v_fma_f64 v[57:58], v[57:58], v[11:12], -v[13:14]
	v_fma_f64 v[65:66], v[65:66], v[15:16], v[130:131]
	v_fma_f64 v[16:17], v[67:68], v[15:16], -v[17:18]
	v_fma_f64 v[59:60], v[59:60], v[19:20], v[132:133]
	;; [unrolled: 2-line block ×7, first 2 shown]
	v_fma_f64 v[38:39], v[120:121], v[39:40], -v[41:42]
	ds_read_b128 v[4:7], v52
	ds_read_b128 v[8:11], v53
	;; [unrolled: 1-line block ×3, first 2 shown]
	v_fma_f64 v[40:41], v[122:123], v[43:44], v[81:82]
	v_fma_f64 v[42:43], v[124:125], v[43:44], -v[45:46]
	v_add_f64 v[44:45], v[47:48], v[55:56]
	s_waitcnt lgkmcnt(3)
	v_add_f64 v[53:54], v[128:129], v[49:50]
	v_add_f64 v[51:52], v[49:50], v[57:58]
	v_add_f64 v[61:62], v[126:127], v[47:48]
	v_add_f64 v[49:50], v[49:50], -v[57:58]
	v_add_f64 v[77:78], v[73:74], v[65:66]
	v_add_f64 v[71:72], v[75:76], v[16:17]
	;; [unrolled: 1-line block ×4, first 2 shown]
	v_add_f64 v[46:47], v[47:48], -v[55:56]
	v_add_f64 v[79:80], v[16:17], -v[20:21]
	v_add_f64 v[81:82], v[18:19], v[24:25]
	v_add_f64 v[110:111], v[22:23], v[26:27]
	v_add_f64 v[65:66], v[65:66], -v[59:60]
	v_add_f64 v[118:119], v[18:19], -v[24:25]
	v_add_f64 v[120:121], v[28:29], v[32:33]
	v_add_f64 v[122:123], v[30:31], v[34:35]
	s_waitcnt lgkmcnt(1)
	v_add_f64 v[124:125], v[10:11], v[30:31]
	v_add_f64 v[134:135], v[30:31], -v[34:35]
	v_add_f64 v[130:131], v[8:9], v[28:29]
	v_add_f64 v[132:133], v[36:37], v[40:41]
	;; [unrolled: 1-line block ×3, first 2 shown]
	v_add_f64 v[136:137], v[28:29], -v[32:33]
	s_waitcnt lgkmcnt(0)
	v_add_f64 v[28:29], v[14:15], v[38:39]
	v_fma_f64 v[44:45], v[44:45], -0.5, v[126:127]
	v_add_f64 v[126:127], v[38:39], -v[42:43]
	v_fma_f64 v[38:39], v[51:52], -0.5, v[128:129]
	v_add_f64 v[114:115], v[4:5], v[18:19]
	v_add_f64 v[18:19], v[53:54], v[57:58]
	v_fma_f64 v[51:52], v[67:68], -0.5, v[73:74]
	v_fma_f64 v[53:54], v[69:70], -0.5, v[75:76]
	v_add_f64 v[138:139], v[12:13], v[36:37]
	v_add_f64 v[112:113], v[6:7], v[22:23]
	v_add_f64 v[116:117], v[22:23], -v[26:27]
	v_fma_f64 v[4:5], v[81:82], -0.5, v[4:5]
	v_fma_f64 v[6:7], v[110:111], -0.5, v[6:7]
	v_add_f64 v[16:17], v[61:62], v[55:56]
	v_add_f64 v[22:23], v[71:72], v[20:21]
	;; [unrolled: 1-line block ×3, first 2 shown]
	v_fma_f64 v[55:56], v[120:121], -0.5, v[8:9]
	v_fma_f64 v[58:59], v[122:123], -0.5, v[10:11]
	v_add_f64 v[128:129], v[36:37], -v[40:41]
	v_fma_f64 v[62:63], v[132:133], -0.5, v[12:13]
	v_fma_f64 v[67:68], v[30:31], -0.5, v[14:15]
	v_add_f64 v[10:11], v[124:125], v[34:35]
	v_add_f64 v[14:15], v[28:29], v[42:43]
	v_fma_f64 v[28:29], v[49:50], s[4:5], v[44:45]
	v_add_f64 v[8:9], v[130:131], v[32:33]
	v_fma_f64 v[30:31], v[46:47], s[6:7], v[38:39]
	v_fma_f64 v[32:33], v[49:50], s[6:7], v[44:45]
	;; [unrolled: 1-line block ×5, first 2 shown]
	v_add_f64 v[12:13], v[138:139], v[40:41]
	v_fma_f64 v[40:41], v[79:80], s[6:7], v[51:52]
	v_fma_f64 v[42:43], v[65:66], s[4:5], v[53:54]
	v_add_f64 v[26:27], v[112:113], v[26:27]
	v_add_f64 v[24:25], v[114:115], v[24:25]
	v_fma_f64 v[44:45], v[116:117], s[4:5], v[4:5]
	v_fma_f64 v[46:47], v[118:119], s[6:7], v[6:7]
	v_fma_f64 v[48:49], v[116:117], s[6:7], v[4:5]
	v_fma_f64 v[50:51], v[118:119], s[4:5], v[6:7]
	v_fma_f64 v[52:53], v[134:135], s[4:5], v[55:56]
	v_fma_f64 v[56:57], v[134:135], s[6:7], v[55:56]
	v_fma_f64 v[54:55], v[136:137], s[6:7], v[58:59]
	v_fma_f64 v[58:59], v[136:137], s[4:5], v[58:59]
	v_fma_f64 v[60:61], v[126:127], s[4:5], v[62:63]
	v_fma_f64 v[4:5], v[126:127], s[6:7], v[62:63]
	v_fma_f64 v[62:63], v[128:129], s[6:7], v[67:68]
	v_fma_f64 v[6:7], v[128:129], s[4:5], v[67:68]
	v_add3_u32 v65, 0, v147, v151
	v_add3_u32 v66, 0, v148, v83
	;; [unrolled: 1-line block ×4, first 2 shown]
	s_barrier
	buffer_gl0_inv
	ds_write_b128 v146, v[16:19]
	ds_write_b128 v146, v[28:31] offset:288
	ds_write_b128 v146, v[32:35] offset:576
	ds_write_b128 v65, v[20:23]
	ds_write_b128 v65, v[36:39] offset:288
	ds_write_b128 v65, v[40:43] offset:576
	ds_write_b128 v66, v[24:27]
	ds_write_b128 v66, v[44:47] offset:288
	ds_write_b128 v66, v[48:51] offset:576
	ds_write_b128 v67, v[8:11]
	ds_write_b128 v67, v[52:55] offset:288
	ds_write_b128 v67, v[56:59] offset:576
	ds_write_b128 v68, v[12:15]
	ds_write_b128 v68, v[60:63] offset:288
	ds_write_b128 v68, v[4:7] offset:576
	s_waitcnt lgkmcnt(0)
	s_barrier
	buffer_gl0_inv
	ds_read_b128 v[28:31], v98
	ds_read_b128 v[76:79], v98 offset:4320
	ds_read_b128 v[68:71], v98 offset:8640
	;; [unrolled: 1-line block ×11, first 2 shown]
	ds_read_b128 v[32:35], v64
	ds_read_b128 v[64:67], v98 offset:27936
	v_sub_nc_u32_e32 v8, 0, v106
                                        ; implicit-def: $vgpr26_vgpr27
                                        ; implicit-def: $vgpr22_vgpr23
                                        ; implicit-def: $vgpr18_vgpr19
                                        ; implicit-def: $vgpr14_vgpr15
                                        ; implicit-def: $vgpr10_vgpr11
	v_add_nc_u32_e32 v105, v105, v8
	s_and_saveexec_b32 s4, s1
	s_cbranch_execz .LBB0_17
; %bb.16:
	ds_read_b128 v[4:7], v105
	ds_read_b128 v[0:3], v98 offset:8352
	ds_read_b128 v[8:11], v98 offset:12672
	;; [unrolled: 1-line block ×6, first 2 shown]
.LBB0_17:
	s_or_b32 exec_lo, exec_lo, s4
	v_mul_lo_u16 v106, v108, 19
	v_mov_b32_e32 v115, 6
	v_mul_lo_u16 v107, v107, 19
	s_mov_b32 s8, 0x37e14327
	s_mov_b32 s6, 0x36b3c0b5
	v_lshrrev_b16 v106, 10, v106
	s_mov_b32 s16, 0xe976ee23
	v_lshrrev_b16 v110, 10, v107
	s_mov_b32 s4, 0x429ad128
	s_mov_b32 s9, 0x3fe948f6
	v_mul_lo_u16 v108, v106, 54
	s_mov_b32 s7, 0x3fac98ee
	v_mul_lo_u16 v111, v110, 54
	s_mov_b32 s17, 0x3fe11646
	s_mov_b32 s5, 0xbfebfeb5
	v_sub_nc_u16 v108, v86, v108
	s_mov_b32 s14, 0xaaaaaaaa
	s_mov_b32 s18, 0x5476071b
	;; [unrolled: 1-line block ×4, first 2 shown]
	v_mul_u32_u24_sdwa v107, v108, v115 dst_sel:DWORD dst_unused:UNUSED_PAD src0_sel:BYTE_0 src1_sel:DWORD
	s_mov_b32 s19, 0x3fe77f67
	s_mov_b32 s21, 0xbfe77f67
	;; [unrolled: 1-line block ×4, first 2 shown]
	v_lshlrev_b32_e32 v131, 4, v107
	v_sub_nc_u16 v107, v90, v111
	s_mov_b32 s20, s18
	s_mov_b32 s26, s22
	;; [unrolled: 1-line block ×3, first 2 shown]
	global_load_dwordx4 v[111:114], v131, s[12:13] offset:832
	v_mul_u32_u24_sdwa v127, v107, v115 dst_sel:DWORD dst_unused:UNUSED_PAD src0_sel:BYTE_0 src1_sel:DWORD
	s_clause 0x2
	global_load_dwordx4 v[115:118], v131, s[12:13] offset:848
	global_load_dwordx4 v[119:122], v131, s[12:13] offset:864
	;; [unrolled: 1-line block ×3, first 2 shown]
	s_mov_b32 s25, 0xbfdc38aa
	v_mov_b32_e32 v181, 0x17a0
	v_lshlrev_b32_sdwa v108, v109, v108 dst_sel:DWORD dst_unused:UNUSED_PAD src0_sel:DWORD src1_sel:BYTE_0
	v_lshlrev_b32_e32 v155, 4, v127
	s_clause 0x7
	global_load_dwordx4 v[127:130], v131, s[12:13] offset:896
	global_load_dwordx4 v[131:134], v131, s[12:13] offset:880
	;; [unrolled: 1-line block ×8, first 2 shown]
	v_mul_u32_u24_sdwa v106, v106, v181 dst_sel:DWORD dst_unused:UNUSED_PAD src0_sel:WORD_0 src1_sel:DWORD
	s_waitcnt vmcnt(0) lgkmcnt(0)
	s_barrier
	buffer_gl0_inv
	v_mul_f64 v[161:162], v[70:71], v[117:118]
	v_mul_f64 v[159:160], v[78:79], v[113:114]
	;; [unrolled: 1-line block ×20, first 2 shown]
	v_fma_f64 v[68:69], v[68:69], v[115:116], v[161:162]
	v_fma_f64 v[76:77], v[76:77], v[111:112], v[159:160]
	v_fma_f64 v[78:79], v[78:79], v[111:112], -v[113:114]
	v_mul_f64 v[111:112], v[52:53], v[153:154]
	v_mul_f64 v[113:114], v[36:37], v[145:146]
	v_mul_f64 v[145:146], v[42:43], v[157:158]
	v_mul_f64 v[153:154], v[40:41], v[157:158]
	v_fma_f64 v[70:71], v[70:71], v[115:116], -v[117:118]
	v_fma_f64 v[80:81], v[80:81], v[123:124], v[165:166]
	v_fma_f64 v[82:83], v[82:83], v[123:124], -v[125:126]
	v_fma_f64 v[72:73], v[72:73], v[127:128], v[167:168]
	;; [unrolled: 2-line block ×8, first 2 shown]
	v_fma_f64 v[36:37], v[36:37], v[143:144], v[175:176]
	v_fma_f64 v[54:55], v[54:55], v[151:152], -v[111:112]
	v_fma_f64 v[38:39], v[38:39], v[143:144], -v[113:114]
	v_fma_f64 v[40:41], v[40:41], v[155:156], v[145:146]
	v_fma_f64 v[42:43], v[42:43], v[155:156], -v[153:154]
	v_add_f64 v[111:112], v[76:77], v[80:81]
	v_add_f64 v[113:114], v[78:79], v[82:83]
	;; [unrolled: 1-line block ×4, first 2 shown]
	v_add_f64 v[76:77], v[76:77], -v[80:81]
	v_add_f64 v[78:79], v[78:79], -v[82:83]
	v_add_f64 v[80:81], v[56:57], v[60:61]
	v_add_f64 v[82:83], v[58:59], v[62:63]
	v_add_f64 v[56:57], v[60:61], -v[56:57]
	v_add_f64 v[58:59], v[62:63], -v[58:59]
	v_add_f64 v[60:61], v[48:49], v[64:65]
	v_add_f64 v[62:63], v[50:51], v[66:67]
	v_add_f64 v[48:49], v[48:49], -v[64:65]
	v_add_f64 v[50:51], v[50:51], -v[66:67]
	v_add_f64 v[64:65], v[44:45], v[52:53]
	v_add_f64 v[68:69], v[68:69], -v[72:73]
	v_add_f64 v[70:71], v[70:71], -v[74:75]
	;; [unrolled: 3-line block ×3, first 2 shown]
	v_add_f64 v[52:53], v[36:37], v[40:41]
	v_add_f64 v[54:55], v[38:39], v[42:43]
	v_add_f64 v[36:37], v[40:41], -v[36:37]
	v_add_f64 v[38:39], v[42:43], -v[38:39]
	v_add_f64 v[40:41], v[115:116], v[111:112]
	v_add_f64 v[42:43], v[117:118], v[113:114]
	v_add_f64 v[72:73], v[115:116], -v[111:112]
	v_add_f64 v[74:75], v[117:118], -v[113:114]
	v_add_f64 v[111:112], v[111:112], -v[80:81]
	v_add_f64 v[113:114], v[113:114], -v[82:83]
	v_add_f64 v[115:116], v[80:81], -v[115:116]
	v_add_f64 v[117:118], v[82:83], -v[117:118]
	v_add_f64 v[127:128], v[64:65], v[60:61]
	v_add_f64 v[119:120], v[56:57], v[68:69]
	;; [unrolled: 1-line block ×4, first 2 shown]
	v_add_f64 v[123:124], v[56:57], -v[68:69]
	v_add_f64 v[125:126], v[58:59], -v[70:71]
	;; [unrolled: 1-line block ×6, first 2 shown]
	v_add_f64 v[40:41], v[80:81], v[40:41]
	v_add_f64 v[42:43], v[82:83], v[42:43]
	v_add_f64 v[60:61], v[60:61], -v[52:53]
	v_add_f64 v[62:63], v[62:63], -v[54:55]
	;; [unrolled: 1-line block ×4, first 2 shown]
	v_add_f64 v[137:138], v[38:39], v[46:47]
	v_add_f64 v[139:140], v[36:37], -v[44:45]
	v_add_f64 v[141:142], v[38:39], -v[46:47]
	v_add_f64 v[135:136], v[36:37], v[44:45]
	v_add_f64 v[44:45], v[44:45], -v[48:49]
	v_add_f64 v[46:47], v[46:47], -v[50:51]
	;; [unrolled: 3-line block ×4, first 2 shown]
	v_add_f64 v[76:77], v[119:120], v[76:77]
	v_add_f64 v[78:79], v[121:122], v[78:79]
	v_mul_f64 v[111:112], v[111:112], s[8:9]
	v_mul_f64 v[113:114], v[113:114], s[8:9]
	;; [unrolled: 1-line block ×8, first 2 shown]
	v_add_f64 v[36:37], v[28:29], v[40:41]
	v_add_f64 v[38:39], v[30:31], v[42:43]
	;; [unrolled: 1-line block ×3, first 2 shown]
	v_mul_f64 v[60:61], v[60:61], s[8:9]
	v_mul_f64 v[62:63], v[62:63], s[8:9]
	;; [unrolled: 1-line block ×4, first 2 shown]
	v_add_f64 v[30:31], v[32:33], v[52:53]
	v_mul_f64 v[141:142], v[44:45], s[4:5]
	v_add_f64 v[32:33], v[34:35], v[54:55]
	v_mul_f64 v[143:144], v[46:47], s[4:5]
	;; [unrolled: 2-line block ×3, first 2 shown]
	v_mul_f64 v[135:136], v[66:67], s[6:7]
	v_fma_f64 v[115:116], v[115:116], s[6:7], v[111:112]
	v_fma_f64 v[117:118], v[117:118], s[6:7], v[113:114]
	v_fma_f64 v[119:120], v[72:73], s[18:19], -v[119:120]
	v_fma_f64 v[121:122], v[74:75], s[18:19], -v[121:122]
	;; [unrolled: 1-line block ×4, first 2 shown]
	v_fma_f64 v[74:75], v[56:57], s[22:23], v[123:124]
	v_fma_f64 v[111:112], v[58:59], s[22:23], v[125:126]
	v_fma_f64 v[68:69], v[68:69], s[4:5], -v[123:124]
	v_fma_f64 v[70:71], v[70:71], s[4:5], -v[125:126]
	;; [unrolled: 1-line block ×4, first 2 shown]
	v_fma_f64 v[40:41], v[40:41], s[14:15], v[36:37]
	v_fma_f64 v[42:43], v[42:43], s[14:15], v[38:39]
	v_fma_f64 v[64:65], v[64:65], s[6:7], v[60:61]
	v_fma_f64 v[66:67], v[66:67], s[6:7], v[62:63]
	v_fma_f64 v[123:124], v[80:81], s[22:23], v[137:138]
	v_fma_f64 v[125:126], v[82:83], s[22:23], v[139:140]
	v_fma_f64 v[52:53], v[52:53], s[14:15], v[30:31]
	v_fma_f64 v[54:55], v[54:55], s[14:15], v[32:33]
	v_fma_f64 v[80:81], v[80:81], s[26:27], -v[141:142]
	v_fma_f64 v[82:83], v[82:83], s[26:27], -v[143:144]
	;; [unrolled: 1-line block ×8, first 2 shown]
	v_fma_f64 v[74:75], v[76:77], s[24:25], v[74:75]
	v_fma_f64 v[111:112], v[78:79], s[24:25], v[111:112]
	;; [unrolled: 1-line block ×6, first 2 shown]
	v_add_f64 v[78:79], v[115:116], v[40:41]
	v_add_f64 v[115:116], v[117:118], v[42:43]
	;; [unrolled: 1-line block ×6, first 2 shown]
	v_fma_f64 v[119:120], v[48:49], s[24:25], v[123:124]
	v_fma_f64 v[121:122], v[50:51], s[24:25], v[125:126]
	v_add_f64 v[129:130], v[64:65], v[52:53]
	v_add_f64 v[131:132], v[66:67], v[54:55]
	v_fma_f64 v[127:128], v[48:49], s[24:25], v[80:81]
	v_fma_f64 v[80:81], v[50:51], s[24:25], v[82:83]
	v_add_f64 v[82:83], v[60:61], v[52:53]
	v_add_f64 v[133:134], v[62:63], v[54:55]
	;; [unrolled: 4-line block ×3, first 2 shown]
	v_mul_u32_u24_sdwa v135, v110, v181 dst_sel:DWORD dst_unused:UNUSED_PAD src0_sel:WORD_0 src1_sel:DWORD
	v_add_f64 v[40:41], v[111:112], v[78:79]
	v_add_f64 v[42:43], v[115:116], -v[74:75]
	v_add_f64 v[44:45], v[56:57], v[34:35]
	v_add_f64 v[46:47], v[58:59], -v[76:77]
	v_add_f64 v[48:49], v[72:73], -v[70:71]
	v_add_f64 v[50:51], v[68:69], v[117:118]
	v_add_f64 v[52:53], v[70:71], v[72:73]
	v_add_f64 v[54:55], v[117:118], -v[68:69]
	v_add_f64 v[56:57], v[34:35], -v[56:57]
	v_add_f64 v[58:59], v[76:77], v[58:59]
	v_add_f64 v[60:61], v[78:79], -v[111:112]
	v_add_f64 v[62:63], v[74:75], v[115:116]
	v_add_f64 v[64:65], v[121:122], v[129:130]
	v_add_f64 v[66:67], v[131:132], -v[119:120]
	v_add_f64 v[68:69], v[80:81], v[82:83]
	v_add_f64 v[70:71], v[133:134], -v[127:128]
	v_add_f64 v[72:73], v[28:29], -v[125:126]
	v_add_f64 v[74:75], v[123:124], v[113:114]
	v_add_f64 v[76:77], v[125:126], v[28:29]
	v_add_f64 v[78:79], v[113:114], -v[123:124]
	v_add_f64 v[80:81], v[82:83], -v[80:81]
	v_add_f64 v[82:83], v[127:128], v[133:134]
	v_add_f64 v[110:111], v[129:130], -v[121:122]
	v_add_f64 v[112:113], v[119:120], v[131:132]
	v_lshlrev_b32_sdwa v34, v109, v107 dst_sel:DWORD dst_unused:UNUSED_PAD src0_sel:DWORD src1_sel:BYTE_0
	v_sub_nc_u32_e32 v28, 0, v103
	v_sub_nc_u32_e32 v29, 0, v104
	v_add3_u32 v35, 0, v106, v108
	v_add3_u32 v34, 0, v135, v34
	ds_write_b128 v35, v[36:39]
	ds_write_b128 v35, v[40:43] offset:864
	ds_write_b128 v35, v[44:47] offset:1728
	;; [unrolled: 1-line block ×6, first 2 shown]
	ds_write_b128 v34, v[30:33]
	ds_write_b128 v34, v[64:67] offset:864
	ds_write_b128 v34, v[68:71] offset:1728
	ds_write_b128 v34, v[72:75] offset:2592
	ds_write_b128 v34, v[76:79] offset:3456
	ds_write_b128 v34, v[80:83] offset:4320
	ds_write_b128 v34, v[110:113] offset:5184
	s_and_saveexec_b32 s28, s1
	s_cbranch_execz .LBB0_19
; %bb.18:
	v_lshrrev_b16 v30, 1, v96
	v_mov_b32_e32 v31, 0x97b5
	v_mul_u32_u24_sdwa v30, v30, v31 dst_sel:DWORD dst_unused:UNUSED_PAD src0_sel:WORD_0 src1_sel:DWORD
	v_lshrrev_b32_e32 v30, 20, v30
	v_mul_lo_u16 v30, v30, 54
	v_sub_nc_u16 v30, v96, v30
	v_and_b32_e32 v66, 0xffff, v30
	v_mul_u32_u24_e32 v30, 6, v66
	v_lshlrev_b32_e32 v50, 4, v30
	s_clause 0x5
	global_load_dwordx4 v[30:33], v50, s[12:13] offset:848
	global_load_dwordx4 v[34:37], v50, s[12:13] offset:896
	;; [unrolled: 1-line block ×6, first 2 shown]
	s_waitcnt vmcnt(5)
	v_mul_f64 v[54:55], v[8:9], v[32:33]
	s_waitcnt vmcnt(4)
	v_mul_f64 v[56:57], v[20:21], v[36:37]
	;; [unrolled: 2-line block ×4, first 2 shown]
	v_mul_f64 v[32:33], v[10:11], v[32:33]
	v_mul_f64 v[36:37], v[22:23], v[36:37]
	;; [unrolled: 1-line block ×4, first 2 shown]
	s_waitcnt vmcnt(1)
	v_mul_f64 v[62:63], v[18:19], v[48:49]
	s_waitcnt vmcnt(0)
	v_mul_f64 v[64:65], v[14:15], v[52:53]
	v_mul_f64 v[52:53], v[12:13], v[52:53]
	v_mul_f64 v[48:49], v[16:17], v[48:49]
	v_fma_f64 v[10:11], v[10:11], v[30:31], -v[54:55]
	v_fma_f64 v[22:23], v[22:23], v[34:35], -v[56:57]
	;; [unrolled: 1-line block ×4, first 2 shown]
	v_fma_f64 v[8:9], v[8:9], v[30:31], v[32:33]
	v_fma_f64 v[20:21], v[20:21], v[34:35], v[36:37]
	;; [unrolled: 1-line block ×6, first 2 shown]
	v_fma_f64 v[14:15], v[14:15], v[50:51], -v[52:53]
	v_fma_f64 v[18:19], v[18:19], v[46:47], -v[48:49]
	v_add_f64 v[30:31], v[10:11], v[22:23]
	v_add_f64 v[10:11], v[10:11], -v[22:23]
	v_add_f64 v[32:33], v[2:3], v[26:27]
	v_add_f64 v[34:35], v[8:9], v[20:21]
	v_add_f64 v[8:9], v[8:9], -v[20:21]
	v_add_f64 v[36:37], v[0:1], v[24:25]
	v_add_f64 v[38:39], v[16:17], -v[12:13]
	v_add_f64 v[12:13], v[12:13], v[16:17]
	v_add_f64 v[20:21], v[14:15], v[18:19]
	v_add_f64 v[16:17], v[0:1], -v[24:25]
	v_add_f64 v[14:15], v[18:19], -v[14:15]
	;; [unrolled: 1-line block ×3, first 2 shown]
	v_add_f64 v[0:1], v[30:31], v[32:33]
	v_add_f64 v[2:3], v[34:35], v[36:37]
	v_add_f64 v[22:23], v[38:39], -v[8:9]
	v_add_f64 v[26:27], v[36:37], -v[12:13]
	;; [unrolled: 1-line block ×4, first 2 shown]
	v_add_f64 v[8:9], v[38:39], v[8:9]
	v_add_f64 v[44:45], v[10:11], -v[18:19]
	v_add_f64 v[38:39], v[16:17], -v[38:39]
	v_add_f64 v[42:43], v[20:21], v[0:1]
	v_add_f64 v[20:21], v[20:21], -v[30:31]
	v_add_f64 v[0:1], v[14:15], -v[10:11]
	v_add_f64 v[10:11], v[14:15], v[10:11]
	v_add_f64 v[46:47], v[12:13], v[2:3]
	v_add_f64 v[12:13], v[12:13], -v[34:35]
	v_mul_f64 v[22:23], v[22:23], s[16:17]
	v_mul_f64 v[26:27], v[26:27], s[8:9]
	;; [unrolled: 1-line block ×4, first 2 shown]
	v_add_f64 v[14:15], v[18:19], -v[14:15]
	v_mul_f64 v[50:51], v[44:45], s[4:5]
	v_add_f64 v[8:9], v[8:9], v[16:17]
	v_add_f64 v[2:3], v[6:7], v[42:43]
	v_add_f64 v[6:7], v[30:31], -v[32:33]
	v_mul_f64 v[30:31], v[20:21], s[6:7]
	v_mul_f64 v[32:33], v[0:1], s[16:17]
	v_add_f64 v[0:1], v[4:5], v[46:47]
	v_add_f64 v[4:5], v[34:35], -v[36:37]
	v_mul_f64 v[34:35], v[12:13], s[6:7]
	v_add_f64 v[10:11], v[10:11], v[18:19]
	v_fma_f64 v[16:17], v[38:39], s[22:23], v[22:23]
	v_fma_f64 v[18:19], v[20:21], s[6:7], v[24:25]
	;; [unrolled: 1-line block ×3, first 2 shown]
	v_fma_f64 v[20:21], v[38:39], s[26:27], -v[48:49]
	v_fma_f64 v[22:23], v[40:41], s[4:5], -v[22:23]
	v_fma_f64 v[36:37], v[42:43], s[14:15], v[2:3]
	v_fma_f64 v[24:25], v[6:7], s[20:21], -v[24:25]
	v_fma_f64 v[6:7], v[6:7], s[18:19], -v[30:31]
	v_fma_f64 v[30:31], v[14:15], s[22:23], v[32:33]
	v_fma_f64 v[38:39], v[46:47], s[14:15], v[0:1]
	v_fma_f64 v[14:15], v[14:15], s[26:27], -v[50:51]
	v_fma_f64 v[26:27], v[4:5], s[20:21], -v[26:27]
	;; [unrolled: 1-line block ×4, first 2 shown]
	v_fma_f64 v[16:17], v[8:9], s[24:25], v[16:17]
	v_fma_f64 v[20:21], v[8:9], s[24:25], v[20:21]
	;; [unrolled: 1-line block ×3, first 2 shown]
	v_add_f64 v[34:35], v[18:19], v[36:37]
	v_add_f64 v[22:23], v[24:25], v[36:37]
	;; [unrolled: 1-line block ×3, first 2 shown]
	v_fma_f64 v[30:31], v[10:11], s[24:25], v[30:31]
	v_add_f64 v[40:41], v[12:13], v[38:39]
	v_fma_f64 v[36:37], v[10:11], s[24:25], v[14:15]
	v_add_f64 v[42:43], v[26:27], v[38:39]
	;; [unrolled: 2-line block ×3, first 2 shown]
	v_add_f64 v[26:27], v[34:35], -v[16:17]
	v_add_f64 v[10:11], v[20:21], v[22:23]
	v_add_f64 v[22:23], v[22:23], -v[20:21]
	v_add_f64 v[6:7], v[16:17], v[34:35]
	v_add_f64 v[24:25], v[30:31], v[40:41]
	v_add_f64 v[14:15], v[18:19], -v[8:9]
	v_add_f64 v[20:21], v[36:37], v[42:43]
	;; [unrolled: 3-line block ×3, first 2 shown]
	v_add_f64 v[8:9], v[42:43], -v[36:37]
	v_add_f64 v[4:5], v[40:41], -v[30:31]
	v_lshl_add_u32 v30, v66, 4, 0
	ds_write_b128 v30, v[0:3] offset:24192
	ds_write_b128 v30, v[24:27] offset:25056
	;; [unrolled: 1-line block ×7, first 2 shown]
.LBB0_19:
	s_or_b32 exec_lo, exec_lo, s28
	v_lshlrev_b32_e32 v0, 2, v86
	v_mov_b32_e32 v1, 0
	s_waitcnt lgkmcnt(0)
	s_barrier
	buffer_gl0_inv
	s_mov_b32 s8, 0x134454ff
	v_lshlrev_b64 v[2:3], 4, v[0:1]
	v_lshlrev_b32_e32 v0, 2, v90
	s_mov_b32 s9, 0xbfee6f0e
	s_mov_b32 s15, 0x3fee6f0e
	;; [unrolled: 1-line block ×4, first 2 shown]
	v_add_co_u32 v4, s1, s12, v2
	v_add_co_ci_u32_e64 v5, s1, s13, v3, s1
	v_lshlrev_b64 v[2:3], 4, v[0:1]
	v_add_co_u32 v10, s1, 0x1780, v4
	v_add_co_ci_u32_e64 v11, s1, 0, v5, s1
	v_lshlrev_b32_e32 v0, 2, v96
	v_add_co_u32 v6, s1, s12, v2
	v_add_co_ci_u32_e64 v7, s1, s13, v3, s1
	v_add_co_u32 v2, s1, 0x1000, v4
	v_add_co_ci_u32_e64 v3, s1, 0, v5, s1
	v_add_co_u32 v21, s1, 0x1000, v6
	v_lshlrev_b64 v[30:31], 4, v[0:1]
	v_add_co_ci_u32_e64 v22, s1, 0, v7, s1
	v_add_co_u32 v25, s1, 0x1780, v6
	v_add_co_ci_u32_e64 v26, s1, 0, v7, s1
	v_add_co_u32 v0, s1, s12, v30
	v_add_co_ci_u32_e64 v12, s1, s13, v31, s1
	s_clause 0x4
	global_load_dwordx4 v[2:5], v[2:3], off offset:1920
	global_load_dwordx4 v[6:9], v[10:11], off offset:48
	;; [unrolled: 1-line block ×5, first 2 shown]
	v_add_co_u32 v10, s1, 0x1000, v0
	v_add_co_ci_u32_e64 v11, s1, 0, v12, s1
	v_add_co_u32 v54, s1, 0x1780, v0
	s_clause 0x1
	global_load_dwordx4 v[30:33], v[25:26], off offset:32
	global_load_dwordx4 v[34:37], v[25:26], off offset:16
	v_add_co_ci_u32_e64 v55, s1, 0, v12, s1
	s_clause 0x4
	global_load_dwordx4 v[38:41], v[25:26], off offset:48
	global_load_dwordx4 v[42:45], v[10:11], off offset:1920
	;; [unrolled: 1-line block ×5, first 2 shown]
	ds_read_b128 v[58:61], v98 offset:18144
	v_add_nc_u32_e32 v11, v102, v29
	v_lshl_add_u32 v10, v92, 4, 0
	v_add_nc_u32_e32 v12, v101, v28
	ds_read_b128 v[25:28], v98
	ds_read_b128 v[62:65], v98 offset:8064
	ds_read_b128 v[66:69], v11
	ds_read_b128 v[70:73], v98 offset:24192
	ds_read_b128 v[74:77], v98 offset:26208
	ds_read_b128 v[78:81], v10
	ds_read_b128 v[101:104], v105
	ds_read_b128 v[106:109], v98 offset:14112
	ds_read_b128 v[110:113], v98 offset:10080
	;; [unrolled: 1-line block ×6, first 2 shown]
	ds_read_b128 v[130:133], v12
	s_mov_b32 s7, 0xbfe2cf23
	s_mov_b32 s17, 0x3fe2cf23
	;; [unrolled: 1-line block ×5, first 2 shown]
	s_waitcnt vmcnt(0) lgkmcnt(0)
	s_barrier
	buffer_gl0_inv
	v_mul_f64 v[82:83], v[68:69], v[4:5]
	v_mul_f64 v[4:5], v[66:67], v[4:5]
	;; [unrolled: 1-line block ×24, first 2 shown]
	v_fma_f64 v[66:67], v[66:67], v[2:3], v[82:83]
	v_fma_f64 v[2:3], v[68:69], v[2:3], -v[4:5]
	v_fma_f64 v[4:5], v[78:79], v[13:14], v[134:135]
	v_fma_f64 v[13:14], v[80:81], v[13:14], -v[15:16]
	;; [unrolled: 2-line block ×3, first 2 shown]
	v_fma_f64 v[17:18], v[60:61], v[17:18], -v[19:20]
	v_fma_f64 v[6:7], v[70:71], v[6:7], v[138:139]
	v_fma_f64 v[19:20], v[62:63], v[21:22], v[140:141]
	v_fma_f64 v[21:22], v[64:65], v[21:22], -v[23:24]
	v_fma_f64 v[23:24], v[106:107], v[34:35], v[142:143]
	v_fma_f64 v[34:35], v[108:109], v[34:35], -v[36:37]
	;; [unrolled: 2-line block ×8, first 2 shown]
	v_add_f64 v[56:57], v[25:26], v[66:67]
	v_add_f64 v[76:77], v[27:28], v[2:3]
	;; [unrolled: 1-line block ×6, first 2 shown]
	v_add_f64 v[60:61], v[2:3], -v[8:9]
	v_add_f64 v[64:65], v[66:67], -v[4:5]
	;; [unrolled: 1-line block ×9, first 2 shown]
	v_add_f64 v[112:113], v[130:131], v[19:20]
	v_add_f64 v[114:115], v[23:24], v[36:37]
	v_add_f64 v[124:125], v[19:20], v[31:32]
	v_add_f64 v[134:135], v[132:133], v[21:22]
	v_add_f64 v[136:137], v[34:35], v[29:30]
	v_add_f64 v[144:145], v[21:22], v[38:39]
	v_add_f64 v[116:117], v[21:22], -v[38:39]
	v_add_f64 v[120:121], v[19:20], -v[23:24]
	;; [unrolled: 1-line block ×6, first 2 shown]
	v_add_f64 v[148:149], v[101:102], v[40:41]
	v_add_f64 v[150:151], v[44:45], v[48:49]
	;; [unrolled: 1-line block ×6, first 2 shown]
	v_add_f64 v[62:63], v[13:14], -v[17:18]
	v_add_f64 v[66:67], v[66:67], -v[6:7]
	;; [unrolled: 1-line block ×5, first 2 shown]
	v_fma_f64 v[58:59], v[58:59], -0.5, v[25:26]
	v_fma_f64 v[25:26], v[70:71], -0.5, v[25:26]
	;; [unrolled: 1-line block ×3, first 2 shown]
	v_add_f64 v[4:5], v[56:57], v[4:5]
	v_add_f64 v[13:14], v[76:77], v[13:14]
	v_fma_f64 v[27:28], v[108:109], -0.5, v[27:28]
	v_add_f64 v[118:119], v[34:35], -v[29:30]
	v_add_f64 v[19:20], v[19:20], -v[31:32]
	;; [unrolled: 1-line block ×3, first 2 shown]
	v_add_f64 v[56:57], v[64:65], v[68:69]
	v_add_f64 v[64:65], v[72:73], v[74:75]
	;; [unrolled: 1-line block ×6, first 2 shown]
	v_fma_f64 v[33:34], v[114:115], -0.5, v[130:131]
	v_fma_f64 v[78:79], v[124:125], -0.5, v[130:131]
	;; [unrolled: 1-line block ×4, first 2 shown]
	v_add_f64 v[152:153], v[40:41], -v[44:45]
	v_add_f64 v[158:159], v[44:45], -v[40:41]
	;; [unrolled: 1-line block ×8, first 2 shown]
	v_add_f64 v[74:75], v[120:121], v[122:123]
	v_add_f64 v[110:111], v[21:22], v[146:147]
	;; [unrolled: 1-line block ×3, first 2 shown]
	v_fma_f64 v[44:45], v[150:151], -0.5, v[101:102]
	v_fma_f64 v[101:102], v[156:157], -0.5, v[101:102]
	v_add_f64 v[46:47], v[162:163], v[46:47]
	v_fma_f64 v[120:121], v[164:165], -0.5, v[103:104]
	v_add_f64 v[142:143], v[38:39], -v[29:30]
	v_fma_f64 v[103:104], v[170:171], -0.5, v[103:104]
	v_add_f64 v[76:77], v[126:127], v[128:129]
	v_add_f64 v[4:5], v[4:5], v[15:16]
	v_fma_f64 v[15:16], v[60:61], s[8:9], v[58:59]
	v_fma_f64 v[58:59], v[60:61], s[14:15], v[58:59]
	;; [unrolled: 1-line block ×3, first 2 shown]
	v_add_f64 v[13:14], v[13:14], v[17:18]
	v_fma_f64 v[17:18], v[66:67], s[14:15], v[70:71]
	v_fma_f64 v[70:71], v[66:67], s[8:9], v[70:71]
	v_fma_f64 v[128:129], v[80:81], s[8:9], v[27:28]
	v_fma_f64 v[25:26], v[62:63], s[8:9], v[25:26]
	v_fma_f64 v[27:28], v[80:81], s[14:15], v[27:28]
	v_add_f64 v[35:36], v[2:3], v[36:37]
	v_fma_f64 v[130:131], v[116:117], s[8:9], v[33:34]
	v_fma_f64 v[132:133], v[118:119], s[14:15], v[78:79]
	;; [unrolled: 1-line block ×3, first 2 shown]
	v_add_f64 v[23:24], v[23:24], v[29:30]
	v_fma_f64 v[29:30], v[19:20], s[14:15], v[82:83]
	v_fma_f64 v[134:135], v[138:139], s[8:9], v[108:109]
	;; [unrolled: 1-line block ×5, first 2 shown]
	v_add_f64 v[154:155], v[52:53], -v[48:49]
	v_add_f64 v[160:161], v[48:49], -v[52:53]
	;; [unrolled: 1-line block ×4, first 2 shown]
	v_add_f64 v[21:22], v[21:22], v[48:49]
	v_fma_f64 v[48:49], v[42:43], s[8:9], v[44:45]
	v_fma_f64 v[136:137], v[176:177], s[14:15], v[101:102]
	v_add_f64 v[46:47], v[46:47], v[50:51]
	v_fma_f64 v[50:51], v[40:41], s[14:15], v[120:121]
	v_add_f64 v[106:107], v[140:141], v[142:143]
	v_fma_f64 v[140:141], v[178:179], s[8:9], v[103:104]
	v_fma_f64 v[101:102], v[176:177], s[8:9], v[101:102]
	;; [unrolled: 1-line block ×13, first 2 shown]
	v_add_f64 v[2:3], v[4:5], v[6:7]
	v_add_f64 v[6:7], v[35:36], v[31:32]
	v_fma_f64 v[35:36], v[118:119], s[6:7], v[130:131]
	v_fma_f64 v[128:129], v[116:117], s[6:7], v[132:133]
	;; [unrolled: 1-line block ×8, first 2 shown]
	v_add_f64 v[112:113], v[152:153], v[154:155]
	v_add_f64 v[122:123], v[166:167], v[168:169]
	;; [unrolled: 1-line block ×4, first 2 shown]
	v_fma_f64 v[52:53], v[176:177], s[6:7], v[48:49]
	v_fma_f64 v[134:135], v[42:43], s[6:7], v[136:137]
	;; [unrolled: 1-line block ×3, first 2 shown]
	v_add_f64 v[114:115], v[158:159], v[160:161]
	v_add_f64 v[124:125], v[172:173], v[174:175]
	v_fma_f64 v[138:139], v[40:41], s[16:17], v[140:141]
	v_fma_f64 v[101:102], v[42:43], s[16:17], v[101:102]
	;; [unrolled: 1-line block ×11, first 2 shown]
	v_add_f64 v[8:9], v[23:24], v[38:39]
	v_fma_f64 v[21:22], v[56:57], s[4:5], v[58:59]
	v_fma_f64 v[23:24], v[68:69], s[4:5], v[70:71]
	;; [unrolled: 1-line block ×6, first 2 shown]
	v_add_f64 v[15:16], v[46:47], v[54:55]
	v_fma_f64 v[45:46], v[76:77], s[4:5], v[78:79]
	v_fma_f64 v[47:48], v[110:111], s[4:5], v[108:109]
	;; [unrolled: 1-line block ×12, first 2 shown]
	ds_write_b128 v98, v[2:5]
	ds_write_b128 v98, v[17:20] offset:6048
	ds_write_b128 v98, v[25:28] offset:12096
	ds_write_b128 v98, v[29:32] offset:18144
	ds_write_b128 v98, v[21:24] offset:24192
	ds_write_b128 v12, v[6:9]
	ds_write_b128 v12, v[33:36] offset:6048
	ds_write_b128 v12, v[41:44] offset:12096
	ds_write_b128 v12, v[45:48] offset:18144
	ds_write_b128 v12, v[37:40] offset:24192
	;; [unrolled: 5-line block ×3, first 2 shown]
	s_waitcnt lgkmcnt(0)
	s_barrier
	buffer_gl0_inv
	ds_read_b128 v[4:7], v98
	v_sub_nc_u32_e32 v13, 0, v87
	s_add_u32 s4, s12, 0x7600
	s_addc_u32 s5, s13, 0
	s_mov_b32 s6, exec_lo
                                        ; implicit-def: $vgpr2_vgpr3
                                        ; implicit-def: $vgpr8_vgpr9
	v_cmpx_ne_u32_e32 0, v86
	s_xor_b32 s6, exec_lo, s6
	s_cbranch_execz .LBB0_21
; %bb.20:
	v_mov_b32_e32 v87, v1
	v_lshlrev_b64 v[0:1], 4, v[86:87]
	v_add_co_u32 v0, s1, s4, v0
	v_add_co_ci_u32_e64 v1, s1, s5, v1, s1
	global_load_dwordx4 v[14:17], v[0:1], off
	ds_read_b128 v[0:3], v13 offset:30240
	s_waitcnt lgkmcnt(0)
	v_add_f64 v[8:9], v[4:5], -v[0:1]
	v_add_f64 v[18:19], v[6:7], v[2:3]
	v_add_f64 v[2:3], v[6:7], -v[2:3]
	v_add_f64 v[0:1], v[4:5], v[0:1]
	v_mul_f64 v[6:7], v[8:9], 0.5
	v_mul_f64 v[4:5], v[18:19], 0.5
	;; [unrolled: 1-line block ×3, first 2 shown]
	s_waitcnt vmcnt(0)
	v_mul_f64 v[8:9], v[6:7], v[16:17]
	v_fma_f64 v[18:19], v[4:5], v[16:17], v[2:3]
	v_fma_f64 v[2:3], v[4:5], v[16:17], -v[2:3]
	v_fma_f64 v[20:21], v[0:1], 0.5, v[8:9]
	v_fma_f64 v[0:1], v[0:1], 0.5, -v[8:9]
	v_fma_f64 v[8:9], -v[14:15], v[6:7], v[18:19]
	v_fma_f64 v[2:3], -v[14:15], v[6:7], v[2:3]
	v_fma_f64 v[16:17], v[4:5], v[14:15], v[20:21]
	v_fma_f64 v[0:1], -v[4:5], v[14:15], v[0:1]
                                        ; implicit-def: $vgpr4_vgpr5
	ds_write_b64 v98, v[16:17]
.LBB0_21:
	s_or_saveexec_b32 s1, s6
	v_sub_nc_u32_e32 v14, 0, v91
	v_sub_nc_u32_e32 v15, 0, v97
	s_xor_b32 exec_lo, exec_lo, s1
	s_cbranch_execz .LBB0_23
; %bb.22:
	v_mov_b32_e32 v20, 0
	s_waitcnt lgkmcnt(0)
	v_add_f64 v[18:19], v[4:5], v[6:7]
	v_add_f64 v[0:1], v[4:5], -v[6:7]
	v_mov_b32_e32 v8, 0
	v_mov_b32_e32 v9, 0
	ds_read_b64 v[16:17], v20 offset:15128
	v_mov_b32_e32 v2, v8
	v_mov_b32_e32 v3, v9
	s_waitcnt lgkmcnt(0)
	v_xor_b32_e32 v17, 0x80000000, v17
	ds_write_b64 v98, v[18:19]
	ds_write_b64 v20, v[16:17] offset:15128
.LBB0_23:
	s_or_b32 exec_lo, exec_lo, s1
	v_mov_b32_e32 v91, 0
	ds_write_b64 v98, v[8:9] offset:8
	ds_write_b128 v13, v[0:3] offset:30240
	v_add_nc_u32_e32 v15, v100, v15
	s_waitcnt lgkmcnt(2)
	v_lshlrev_b64 v[4:5], 4, v[90:91]
	v_mov_b32_e32 v97, v91
	v_lshlrev_b64 v[16:17], 4, v[96:97]
	v_add_co_u32 v4, s1, s4, v4
	v_add_co_ci_u32_e64 v5, s1, s5, v5, s1
	v_mov_b32_e32 v96, v91
	v_add_co_u32 v16, s1, s4, v16
	global_load_dwordx4 v[4:7], v[4:5], off
	v_add_co_ci_u32_e64 v17, s1, s5, v17, s1
	v_lshlrev_b64 v[8:9], 4, v[95:96]
	v_mov_b32_e32 v95, v91
	global_load_dwordx4 v[16:19], v[16:17], off
	ds_read_b128 v[0:3], v12
	ds_read_b128 v[20:23], v13 offset:28224
	v_add_co_u32 v8, s1, s4, v8
	v_add_co_ci_u32_e64 v9, s1, s5, v9, s1
	global_load_dwordx4 v[24:27], v[8:9], off
	s_waitcnt lgkmcnt(0)
	v_add_f64 v[8:9], v[0:1], -v[20:21]
	v_add_f64 v[28:29], v[2:3], v[22:23]
	v_add_f64 v[2:3], v[2:3], -v[22:23]
	v_add_f64 v[0:1], v[0:1], v[20:21]
	v_mul_f64 v[8:9], v[8:9], 0.5
	v_mul_f64 v[22:23], v[28:29], 0.5
	;; [unrolled: 1-line block ×3, first 2 shown]
	s_waitcnt vmcnt(2)
	v_mul_f64 v[20:21], v[8:9], v[6:7]
	v_fma_f64 v[28:29], v[22:23], v[6:7], v[2:3]
	v_fma_f64 v[6:7], v[22:23], v[6:7], -v[2:3]
	v_fma_f64 v[30:31], v[0:1], 0.5, v[20:21]
	v_fma_f64 v[20:21], v[0:1], 0.5, -v[20:21]
	v_fma_f64 v[2:3], -v[4:5], v[8:9], v[28:29]
	v_fma_f64 v[6:7], -v[4:5], v[8:9], v[6:7]
	v_lshlrev_b64 v[8:9], 4, v[94:95]
	v_mov_b32_e32 v94, v91
	v_add_co_u32 v8, s1, s4, v8
	v_add_co_ci_u32_e64 v9, s1, s5, v9, s1
	v_fma_f64 v[0:1], v[22:23], v[4:5], v[30:31]
	v_fma_f64 v[4:5], -v[22:23], v[4:5], v[20:21]
	ds_write_b128 v12, v[0:3]
	ds_write_b128 v13, v[4:7] offset:28224
	ds_read_b128 v[0:3], v105
	ds_read_b128 v[4:7], v13 offset:26208
	global_load_dwordx4 v[20:23], v[8:9], off
	s_waitcnt lgkmcnt(0)
	v_add_f64 v[8:9], v[0:1], -v[4:5]
	v_add_f64 v[28:29], v[2:3], v[6:7]
	v_add_f64 v[2:3], v[2:3], -v[6:7]
	v_add_f64 v[0:1], v[0:1], v[4:5]
	v_mul_f64 v[6:7], v[8:9], 0.5
	v_mul_f64 v[8:9], v[28:29], 0.5
	;; [unrolled: 1-line block ×3, first 2 shown]
	s_waitcnt vmcnt(2)
	v_mul_f64 v[4:5], v[6:7], v[18:19]
	v_fma_f64 v[28:29], v[8:9], v[18:19], v[2:3]
	v_fma_f64 v[18:19], v[8:9], v[18:19], -v[2:3]
	v_fma_f64 v[30:31], v[0:1], 0.5, v[4:5]
	v_fma_f64 v[4:5], v[0:1], 0.5, -v[4:5]
	v_fma_f64 v[2:3], -v[16:17], v[6:7], v[28:29]
	v_fma_f64 v[6:7], -v[16:17], v[6:7], v[18:19]
	v_fma_f64 v[0:1], v[8:9], v[16:17], v[30:31]
	v_fma_f64 v[4:5], -v[8:9], v[16:17], v[4:5]
	v_lshlrev_b64 v[8:9], 4, v[93:94]
	v_mov_b32_e32 v93, v91
	ds_write_b128 v105, v[0:3]
	ds_write_b128 v13, v[4:7] offset:26208
	v_add_co_u32 v8, s1, s4, v8
	ds_read_b128 v[0:3], v11
	ds_read_b128 v[4:7], v13 offset:24192
	v_add_co_ci_u32_e64 v9, s1, s5, v9, s1
	global_load_dwordx4 v[16:19], v[8:9], off
	s_waitcnt lgkmcnt(0)
	v_add_f64 v[8:9], v[0:1], -v[4:5]
	v_add_f64 v[28:29], v[2:3], v[6:7]
	v_add_f64 v[2:3], v[2:3], -v[6:7]
	v_add_f64 v[0:1], v[0:1], v[4:5]
	v_mul_f64 v[6:7], v[8:9], 0.5
	v_mul_f64 v[8:9], v[28:29], 0.5
	;; [unrolled: 1-line block ×3, first 2 shown]
	s_waitcnt vmcnt(2)
	v_mul_f64 v[4:5], v[6:7], v[26:27]
	v_fma_f64 v[28:29], v[8:9], v[26:27], v[2:3]
	v_fma_f64 v[26:27], v[8:9], v[26:27], -v[2:3]
	v_fma_f64 v[30:31], v[0:1], 0.5, v[4:5]
	v_fma_f64 v[4:5], v[0:1], 0.5, -v[4:5]
	v_fma_f64 v[2:3], -v[24:25], v[6:7], v[28:29]
	v_fma_f64 v[6:7], -v[24:25], v[6:7], v[26:27]
	v_fma_f64 v[0:1], v[8:9], v[24:25], v[30:31]
	v_fma_f64 v[4:5], -v[8:9], v[24:25], v[4:5]
	v_lshlrev_b64 v[8:9], 4, v[92:93]
	ds_write_b128 v11, v[0:3]
	ds_write_b128 v13, v[4:7] offset:24192
	v_add_co_u32 v8, s1, s4, v8
	ds_read_b128 v[0:3], v15
	ds_read_b128 v[4:7], v13 offset:22176
	v_add_co_ci_u32_e64 v9, s1, s5, v9, s1
	global_load_dwordx4 v[24:27], v[8:9], off
	s_waitcnt lgkmcnt(0)
	v_add_f64 v[8:9], v[0:1], -v[4:5]
	v_add_f64 v[11:12], v[2:3], v[6:7]
	v_add_f64 v[2:3], v[2:3], -v[6:7]
	v_add_f64 v[0:1], v[0:1], v[4:5]
	v_mul_f64 v[6:7], v[8:9], 0.5
	v_mul_f64 v[8:9], v[11:12], 0.5
	;; [unrolled: 1-line block ×3, first 2 shown]
	s_waitcnt vmcnt(2)
	v_mul_f64 v[4:5], v[6:7], v[22:23]
	v_fma_f64 v[11:12], v[8:9], v[22:23], v[2:3]
	v_fma_f64 v[22:23], v[8:9], v[22:23], -v[2:3]
	v_fma_f64 v[28:29], v[0:1], 0.5, v[4:5]
	v_fma_f64 v[4:5], v[0:1], 0.5, -v[4:5]
	v_fma_f64 v[2:3], -v[20:21], v[6:7], v[11:12]
	v_fma_f64 v[6:7], -v[20:21], v[6:7], v[22:23]
	v_fma_f64 v[0:1], v[8:9], v[20:21], v[28:29]
	v_fma_f64 v[4:5], -v[8:9], v[20:21], v[4:5]
	v_add_nc_u32_e32 v20, v99, v14
	ds_write_b128 v15, v[0:3]
	ds_write_b128 v13, v[4:7] offset:22176
	ds_read_b128 v[0:3], v20
	ds_read_b128 v[4:7], v13 offset:20160
	s_waitcnt lgkmcnt(0)
	v_add_f64 v[8:9], v[0:1], -v[4:5]
	v_add_f64 v[11:12], v[2:3], v[6:7]
	v_add_f64 v[2:3], v[2:3], -v[6:7]
	v_add_f64 v[0:1], v[0:1], v[4:5]
	v_mul_f64 v[6:7], v[8:9], 0.5
	v_mul_f64 v[8:9], v[11:12], 0.5
	v_mul_f64 v[2:3], v[2:3], 0.5
	s_waitcnt vmcnt(1)
	v_mul_f64 v[4:5], v[6:7], v[18:19]
	v_fma_f64 v[11:12], v[8:9], v[18:19], v[2:3]
	v_fma_f64 v[14:15], v[8:9], v[18:19], -v[2:3]
	v_fma_f64 v[18:19], v[0:1], 0.5, v[4:5]
	v_fma_f64 v[4:5], v[0:1], 0.5, -v[4:5]
	v_fma_f64 v[2:3], -v[16:17], v[6:7], v[11:12]
	v_fma_f64 v[6:7], -v[16:17], v[6:7], v[14:15]
	v_fma_f64 v[0:1], v[8:9], v[16:17], v[18:19]
	v_fma_f64 v[4:5], -v[8:9], v[16:17], v[4:5]
	ds_write_b128 v20, v[0:3]
	ds_write_b128 v13, v[4:7] offset:20160
	ds_read_b128 v[0:3], v10
	ds_read_b128 v[4:7], v13 offset:18144
	s_waitcnt lgkmcnt(0)
	v_add_f64 v[8:9], v[0:1], -v[4:5]
	v_add_f64 v[11:12], v[2:3], v[6:7]
	v_add_f64 v[2:3], v[2:3], -v[6:7]
	v_add_f64 v[0:1], v[0:1], v[4:5]
	v_mul_f64 v[6:7], v[8:9], 0.5
	v_mul_f64 v[8:9], v[11:12], 0.5
	;; [unrolled: 1-line block ×3, first 2 shown]
	s_waitcnt vmcnt(0)
	v_mul_f64 v[4:5], v[6:7], v[26:27]
	v_fma_f64 v[11:12], v[8:9], v[26:27], v[2:3]
	v_fma_f64 v[14:15], v[8:9], v[26:27], -v[2:3]
	v_fma_f64 v[16:17], v[0:1], 0.5, v[4:5]
	v_fma_f64 v[4:5], v[0:1], 0.5, -v[4:5]
	v_fma_f64 v[2:3], -v[24:25], v[6:7], v[11:12]
	v_fma_f64 v[6:7], -v[24:25], v[6:7], v[14:15]
	v_fma_f64 v[0:1], v[8:9], v[24:25], v[16:17]
	v_fma_f64 v[4:5], -v[8:9], v[24:25], v[4:5]
	ds_write_b128 v10, v[0:3]
	ds_write_b128 v13, v[4:7] offset:18144
	s_and_saveexec_b32 s1, s0
	s_cbranch_execz .LBB0_25
; %bb.24:
	v_add_nc_u32_e32 v90, 0x372, v86
	v_lshlrev_b64 v[0:1], 4, v[90:91]
	v_add_co_u32 v0, s0, s4, v0
	v_add_co_ci_u32_e64 v1, s0, s5, v1, s0
	global_load_dwordx4 v[0:3], v[0:1], off
	ds_read_b128 v[4:7], v98 offset:14112
	ds_read_b128 v[8:11], v13 offset:16128
	s_waitcnt lgkmcnt(0)
	v_add_f64 v[14:15], v[4:5], -v[8:9]
	v_add_f64 v[16:17], v[6:7], v[10:11]
	v_add_f64 v[6:7], v[6:7], -v[10:11]
	v_add_f64 v[4:5], v[4:5], v[8:9]
	v_mul_f64 v[10:11], v[14:15], 0.5
	v_mul_f64 v[14:15], v[16:17], 0.5
	;; [unrolled: 1-line block ×3, first 2 shown]
	s_waitcnt vmcnt(0)
	v_mul_f64 v[8:9], v[10:11], v[2:3]
	v_fma_f64 v[16:17], v[14:15], v[2:3], v[6:7]
	v_fma_f64 v[2:3], v[14:15], v[2:3], -v[6:7]
	v_fma_f64 v[6:7], v[4:5], 0.5, v[8:9]
	v_fma_f64 v[18:19], v[4:5], 0.5, -v[8:9]
	v_fma_f64 v[4:5], -v[0:1], v[10:11], v[16:17]
	v_fma_f64 v[8:9], -v[0:1], v[10:11], v[2:3]
	v_fma_f64 v[2:3], v[14:15], v[0:1], v[6:7]
	v_fma_f64 v[6:7], -v[14:15], v[0:1], v[18:19]
	ds_write_b128 v98, v[2:5] offset:14112
	ds_write_b128 v13, v[6:9] offset:16128
.LBB0_25:
	s_or_b32 exec_lo, exec_lo, s1
	s_waitcnt lgkmcnt(0)
	s_barrier
	buffer_gl0_inv
	s_and_saveexec_b32 s0, vcc_lo
	s_cbranch_execz .LBB0_28
; %bb.26:
	v_mul_lo_u32 v2, s3, v88
	v_mul_lo_u32 v3, s2, v89
	v_mad_u64_u32 v[0:1], null, s2, v88, 0
	v_lshl_add_u32 v32, v86, 4, 0
	v_mov_b32_e32 v87, 0
	v_lshlrev_b64 v[10:11], 4, v[84:85]
	v_add_nc_u32_e32 v14, 0x7e, v86
	v_add_nc_u32_e32 v16, 0xfc, v86
	;; [unrolled: 1-line block ×3, first 2 shown]
	v_add3_u32 v1, v1, v3, v2
	ds_read_b128 v[2:5], v32
	ds_read_b128 v[6:9], v32 offset:2016
	v_lshlrev_b64 v[18:19], 4, v[86:87]
	v_mov_b32_e32 v15, v87
	v_mov_b32_e32 v17, v87
	v_lshlrev_b64 v[0:1], 4, v[0:1]
	v_mov_b32_e32 v27, v87
	v_add_nc_u32_e32 v30, 0x372, v86
	v_lshlrev_b64 v[14:15], 4, v[14:15]
	v_lshlrev_b64 v[16:17], 4, v[16:17]
	v_mov_b32_e32 v31, v87
	v_add_co_u32 v0, vcc_lo, s10, v0
	v_add_co_ci_u32_e32 v1, vcc_lo, s11, v1, vcc_lo
	v_lshlrev_b64 v[26:27], 4, v[26:27]
	v_add_co_u32 v0, vcc_lo, v0, v10
	v_add_co_ci_u32_e32 v1, vcc_lo, v1, v11, vcc_lo
	ds_read_b128 v[10:13], v32 offset:4032
	v_add_co_u32 v18, vcc_lo, v0, v18
	v_add_co_ci_u32_e32 v19, vcc_lo, v1, v19, vcc_lo
	s_waitcnt lgkmcnt(2)
	global_store_dwordx4 v[18:19], v[2:5], off
	v_add_co_u32 v2, vcc_lo, v0, v14
	v_add_co_ci_u32_e32 v3, vcc_lo, v1, v15, vcc_lo
	v_add_co_u32 v14, vcc_lo, v0, v16
	v_add_co_ci_u32_e32 v15, vcc_lo, v1, v17, vcc_lo
	v_add_nc_u32_e32 v16, 0x17a, v86
	v_mov_b32_e32 v17, v87
	v_add_nc_u32_e32 v18, 0x1f8, v86
	v_mov_b32_e32 v19, v87
	s_waitcnt lgkmcnt(1)
	global_store_dwordx4 v[2:3], v[6:9], off
	ds_read_b128 v[2:5], v32 offset:6048
	s_waitcnt lgkmcnt(1)
	global_store_dwordx4 v[14:15], v[10:13], off
	v_lshlrev_b64 v[14:15], 4, v[16:17]
	v_lshlrev_b64 v[16:17], 4, v[18:19]
	v_add_nc_u32_e32 v18, 0x276, v86
	ds_read_b128 v[6:9], v32 offset:8064
	ds_read_b128 v[10:13], v32 offset:10080
	v_add_co_u32 v22, vcc_lo, v0, v14
	v_lshlrev_b64 v[18:19], 4, v[18:19]
	v_add_co_ci_u32_e32 v23, vcc_lo, v1, v15, vcc_lo
	v_add_co_u32 v24, vcc_lo, v0, v16
	v_add_co_ci_u32_e32 v25, vcc_lo, v1, v17, vcc_lo
	v_add_co_u32 v28, vcc_lo, v0, v18
	ds_read_b128 v[14:17], v32 offset:12096
	v_add_co_ci_u32_e32 v29, vcc_lo, v1, v19, vcc_lo
	ds_read_b128 v[18:21], v32 offset:14112
	s_waitcnt lgkmcnt(4)
	global_store_dwordx4 v[22:23], v[2:5], off
	s_waitcnt lgkmcnt(3)
	global_store_dwordx4 v[24:25], v[6:9], off
	s_waitcnt lgkmcnt(2)
	global_store_dwordx4 v[28:29], v[10:13], off
	v_lshlrev_b64 v[2:3], 4, v[30:31]
	v_add_co_u32 v4, vcc_lo, v0, v26
	v_add_co_ci_u32_e32 v5, vcc_lo, v1, v27, vcc_lo
	v_add_nc_u32_e32 v6, 0x3f0, v86
	v_add_co_u32 v2, vcc_lo, v0, v2
	v_add_co_ci_u32_e32 v3, vcc_lo, v1, v3, vcc_lo
	v_mov_b32_e32 v7, v87
	v_add_nc_u32_e32 v10, 0x46e, v86
	v_mov_b32_e32 v11, v87
	s_waitcnt lgkmcnt(1)
	global_store_dwordx4 v[4:5], v[14:17], off
	v_add_nc_u32_e32 v24, 0x6e4, v86
	v_lshlrev_b64 v[14:15], 4, v[6:7]
	s_waitcnt lgkmcnt(0)
	global_store_dwordx4 v[2:3], v[18:21], off
	ds_read_b128 v[2:5], v32 offset:16128
	ds_read_b128 v[6:9], v32 offset:18144
	v_lshlrev_b64 v[16:17], 4, v[10:11]
	ds_read_b128 v[10:13], v32 offset:20160
	v_add_nc_u32_e32 v18, 0x4ec, v86
	v_mov_b32_e32 v19, v87
	v_add_co_u32 v14, vcc_lo, v0, v14
	v_add_co_ci_u32_e32 v15, vcc_lo, v1, v15, vcc_lo
	v_lshlrev_b64 v[18:19], 4, v[18:19]
	v_add_co_u32 v16, vcc_lo, v0, v16
	v_add_nc_u32_e32 v20, 0x56a, v86
	v_mov_b32_e32 v21, v87
	v_add_co_ci_u32_e32 v17, vcc_lo, v1, v17, vcc_lo
	v_add_co_u32 v18, vcc_lo, v0, v18
	s_waitcnt lgkmcnt(2)
	global_store_dwordx4 v[14:15], v[2:5], off
	s_waitcnt lgkmcnt(1)
	global_store_dwordx4 v[16:17], v[6:9], off
	v_lshlrev_b64 v[6:7], 4, v[20:21]
	v_add_co_ci_u32_e32 v19, vcc_lo, v1, v19, vcc_lo
	v_add_nc_u32_e32 v8, 0x5e8, v86
	v_mov_b32_e32 v9, v87
	v_add_nc_u32_e32 v14, 0x666, v86
	s_waitcnt lgkmcnt(0)
	global_store_dwordx4 v[18:19], v[10:13], off
	v_mov_b32_e32 v15, v87
	v_add_co_u32 v18, vcc_lo, v0, v6
	ds_read_b128 v[2:5], v32 offset:22176
	v_add_co_ci_u32_e32 v19, vcc_lo, v1, v7, vcc_lo
	v_lshlrev_b64 v[20:21], 4, v[8:9]
	ds_read_b128 v[6:9], v32 offset:24192
	ds_read_b128 v[10:13], v32 offset:26208
	v_mov_b32_e32 v25, v87
	v_lshlrev_b64 v[22:23], 4, v[14:15]
	ds_read_b128 v[14:17], v32 offset:28224
	v_add_co_u32 v20, vcc_lo, v0, v20
	v_lshlrev_b64 v[24:25], 4, v[24:25]
	v_add_co_ci_u32_e32 v21, vcc_lo, v1, v21, vcc_lo
	v_add_co_u32 v22, vcc_lo, v0, v22
	v_add_co_ci_u32_e32 v23, vcc_lo, v1, v23, vcc_lo
	v_add_co_u32 v24, vcc_lo, v0, v24
	v_add_co_ci_u32_e32 v25, vcc_lo, v1, v25, vcc_lo
	v_cmp_eq_u32_e32 vcc_lo, 0x7d, v86
	s_waitcnt lgkmcnt(3)
	global_store_dwordx4 v[18:19], v[2:5], off
	s_waitcnt lgkmcnt(2)
	global_store_dwordx4 v[20:21], v[6:9], off
	;; [unrolled: 2-line block ×4, first 2 shown]
	s_and_b32 exec_lo, exec_lo, vcc_lo
	s_cbranch_execz .LBB0_28
; %bb.27:
	ds_read_b128 v[2:5], v87 offset:30240
	v_add_co_u32 v0, vcc_lo, 0x7000, v0
	v_add_co_ci_u32_e32 v1, vcc_lo, 0, v1, vcc_lo
	s_waitcnt lgkmcnt(0)
	global_store_dwordx4 v[0:1], v[2:5], off offset:1568
.LBB0_28:
	s_endpgm
	.section	.rodata,"a",@progbits
	.p2align	6, 0x0
	.amdhsa_kernel fft_rtc_back_len1890_factors_2_3_3_3_7_5_wgs_126_tpt_126_halfLds_dp_op_CI_CI_unitstride_sbrr_R2C_dirReg
		.amdhsa_group_segment_fixed_size 0
		.amdhsa_private_segment_fixed_size 0
		.amdhsa_kernarg_size 104
		.amdhsa_user_sgpr_count 6
		.amdhsa_user_sgpr_private_segment_buffer 1
		.amdhsa_user_sgpr_dispatch_ptr 0
		.amdhsa_user_sgpr_queue_ptr 0
		.amdhsa_user_sgpr_kernarg_segment_ptr 1
		.amdhsa_user_sgpr_dispatch_id 0
		.amdhsa_user_sgpr_flat_scratch_init 0
		.amdhsa_user_sgpr_private_segment_size 0
		.amdhsa_wavefront_size32 1
		.amdhsa_uses_dynamic_stack 0
		.amdhsa_system_sgpr_private_segment_wavefront_offset 0
		.amdhsa_system_sgpr_workgroup_id_x 1
		.amdhsa_system_sgpr_workgroup_id_y 0
		.amdhsa_system_sgpr_workgroup_id_z 0
		.amdhsa_system_sgpr_workgroup_info 0
		.amdhsa_system_vgpr_workitem_id 0
		.amdhsa_next_free_vgpr 182
		.amdhsa_next_free_sgpr 29
		.amdhsa_reserve_vcc 1
		.amdhsa_reserve_flat_scratch 0
		.amdhsa_float_round_mode_32 0
		.amdhsa_float_round_mode_16_64 0
		.amdhsa_float_denorm_mode_32 3
		.amdhsa_float_denorm_mode_16_64 3
		.amdhsa_dx10_clamp 1
		.amdhsa_ieee_mode 1
		.amdhsa_fp16_overflow 0
		.amdhsa_workgroup_processor_mode 1
		.amdhsa_memory_ordered 1
		.amdhsa_forward_progress 0
		.amdhsa_shared_vgpr_count 0
		.amdhsa_exception_fp_ieee_invalid_op 0
		.amdhsa_exception_fp_denorm_src 0
		.amdhsa_exception_fp_ieee_div_zero 0
		.amdhsa_exception_fp_ieee_overflow 0
		.amdhsa_exception_fp_ieee_underflow 0
		.amdhsa_exception_fp_ieee_inexact 0
		.amdhsa_exception_int_div_zero 0
	.end_amdhsa_kernel
	.text
.Lfunc_end0:
	.size	fft_rtc_back_len1890_factors_2_3_3_3_7_5_wgs_126_tpt_126_halfLds_dp_op_CI_CI_unitstride_sbrr_R2C_dirReg, .Lfunc_end0-fft_rtc_back_len1890_factors_2_3_3_3_7_5_wgs_126_tpt_126_halfLds_dp_op_CI_CI_unitstride_sbrr_R2C_dirReg
                                        ; -- End function
	.section	.AMDGPU.csdata,"",@progbits
; Kernel info:
; codeLenInByte = 15864
; NumSgprs: 31
; NumVgprs: 182
; ScratchSize: 0
; MemoryBound: 0
; FloatMode: 240
; IeeeMode: 1
; LDSByteSize: 0 bytes/workgroup (compile time only)
; SGPRBlocks: 3
; VGPRBlocks: 22
; NumSGPRsForWavesPerEU: 31
; NumVGPRsForWavesPerEU: 182
; Occupancy: 5
; WaveLimiterHint : 1
; COMPUTE_PGM_RSRC2:SCRATCH_EN: 0
; COMPUTE_PGM_RSRC2:USER_SGPR: 6
; COMPUTE_PGM_RSRC2:TRAP_HANDLER: 0
; COMPUTE_PGM_RSRC2:TGID_X_EN: 1
; COMPUTE_PGM_RSRC2:TGID_Y_EN: 0
; COMPUTE_PGM_RSRC2:TGID_Z_EN: 0
; COMPUTE_PGM_RSRC2:TIDIG_COMP_CNT: 0
	.text
	.p2alignl 6, 3214868480
	.fill 48, 4, 3214868480
	.type	__hip_cuid_9e6f855a11e4cd28,@object ; @__hip_cuid_9e6f855a11e4cd28
	.section	.bss,"aw",@nobits
	.globl	__hip_cuid_9e6f855a11e4cd28
__hip_cuid_9e6f855a11e4cd28:
	.byte	0                               ; 0x0
	.size	__hip_cuid_9e6f855a11e4cd28, 1

	.ident	"AMD clang version 19.0.0git (https://github.com/RadeonOpenCompute/llvm-project roc-6.4.0 25133 c7fe45cf4b819c5991fe208aaa96edf142730f1d)"
	.section	".note.GNU-stack","",@progbits
	.addrsig
	.addrsig_sym __hip_cuid_9e6f855a11e4cd28
	.amdgpu_metadata
---
amdhsa.kernels:
  - .args:
      - .actual_access:  read_only
        .address_space:  global
        .offset:         0
        .size:           8
        .value_kind:     global_buffer
      - .offset:         8
        .size:           8
        .value_kind:     by_value
      - .actual_access:  read_only
        .address_space:  global
        .offset:         16
        .size:           8
        .value_kind:     global_buffer
      - .actual_access:  read_only
        .address_space:  global
        .offset:         24
        .size:           8
        .value_kind:     global_buffer
      - .actual_access:  read_only
        .address_space:  global
        .offset:         32
        .size:           8
        .value_kind:     global_buffer
      - .offset:         40
        .size:           8
        .value_kind:     by_value
      - .actual_access:  read_only
        .address_space:  global
        .offset:         48
        .size:           8
        .value_kind:     global_buffer
      - .actual_access:  read_only
        .address_space:  global
        .offset:         56
        .size:           8
        .value_kind:     global_buffer
      - .offset:         64
        .size:           4
        .value_kind:     by_value
      - .actual_access:  read_only
        .address_space:  global
        .offset:         72
        .size:           8
        .value_kind:     global_buffer
      - .actual_access:  read_only
        .address_space:  global
        .offset:         80
        .size:           8
        .value_kind:     global_buffer
      - .actual_access:  read_only
        .address_space:  global
        .offset:         88
        .size:           8
        .value_kind:     global_buffer
      - .actual_access:  write_only
        .address_space:  global
        .offset:         96
        .size:           8
        .value_kind:     global_buffer
    .group_segment_fixed_size: 0
    .kernarg_segment_align: 8
    .kernarg_segment_size: 104
    .language:       OpenCL C
    .language_version:
      - 2
      - 0
    .max_flat_workgroup_size: 126
    .name:           fft_rtc_back_len1890_factors_2_3_3_3_7_5_wgs_126_tpt_126_halfLds_dp_op_CI_CI_unitstride_sbrr_R2C_dirReg
    .private_segment_fixed_size: 0
    .sgpr_count:     31
    .sgpr_spill_count: 0
    .symbol:         fft_rtc_back_len1890_factors_2_3_3_3_7_5_wgs_126_tpt_126_halfLds_dp_op_CI_CI_unitstride_sbrr_R2C_dirReg.kd
    .uniform_work_group_size: 1
    .uses_dynamic_stack: false
    .vgpr_count:     182
    .vgpr_spill_count: 0
    .wavefront_size: 32
    .workgroup_processor_mode: 1
amdhsa.target:   amdgcn-amd-amdhsa--gfx1030
amdhsa.version:
  - 1
  - 2
...

	.end_amdgpu_metadata
